;; amdgpu-corpus repo=ROCm/rocFFT kind=compiled arch=gfx1201 opt=O3
	.text
	.amdgcn_target "amdgcn-amd-amdhsa--gfx1201"
	.amdhsa_code_object_version 6
	.protected	fft_rtc_back_len1768_factors_17_13_8_wgs_136_tpt_136_halfLds_dp_op_CI_CI_sbrr_dirReg ; -- Begin function fft_rtc_back_len1768_factors_17_13_8_wgs_136_tpt_136_halfLds_dp_op_CI_CI_sbrr_dirReg
	.globl	fft_rtc_back_len1768_factors_17_13_8_wgs_136_tpt_136_halfLds_dp_op_CI_CI_sbrr_dirReg
	.p2align	8
	.type	fft_rtc_back_len1768_factors_17_13_8_wgs_136_tpt_136_halfLds_dp_op_CI_CI_sbrr_dirReg,@function
fft_rtc_back_len1768_factors_17_13_8_wgs_136_tpt_136_halfLds_dp_op_CI_CI_sbrr_dirReg: ; @fft_rtc_back_len1768_factors_17_13_8_wgs_136_tpt_136_halfLds_dp_op_CI_CI_sbrr_dirReg
; %bb.0:
	s_clause 0x2
	s_load_b128 s[12:15], s[0:1], 0x18
	s_load_b128 s[4:7], s[0:1], 0x0
	;; [unrolled: 1-line block ×3, first 2 shown]
	v_mul_u32_u24_e32 v1, 0x1e2, v0
	v_mov_b32_e32 v3, 0
	s_wait_kmcnt 0x0
	s_load_b64 s[18:19], s[12:13], 0x0
	s_load_b64 s[16:17], s[14:15], 0x0
	v_lshrrev_b32_e32 v1, 16, v1
	v_cmp_lt_u64_e64 s2, s[6:7], 2
	s_delay_alu instid0(VALU_DEP_2)
	v_add_nc_u32_e32 v5, ttmp9, v1
	v_mov_b32_e32 v1, 0
	v_mov_b32_e32 v2, 0
	;; [unrolled: 1-line block ×3, first 2 shown]
	s_and_b32 vcc_lo, exec_lo, s2
	s_cbranch_vccnz .LBB0_8
; %bb.1:
	s_load_b64 s[2:3], s[0:1], 0x10
	v_mov_b32_e32 v1, 0
	v_mov_b32_e32 v2, 0
	s_add_nc_u64 s[20:21], s[14:15], 8
	s_add_nc_u64 s[22:23], s[12:13], 8
	s_mov_b64 s[24:25], 1
	s_delay_alu instid0(VALU_DEP_1)
	v_dual_mov_b32 v103, v2 :: v_dual_mov_b32 v102, v1
	s_wait_kmcnt 0x0
	s_add_nc_u64 s[26:27], s[2:3], 8
	s_mov_b32 s3, 0
.LBB0_2:                                ; =>This Inner Loop Header: Depth=1
	s_load_b64 s[28:29], s[26:27], 0x0
                                        ; implicit-def: $vgpr104_vgpr105
	s_mov_b32 s2, exec_lo
	s_wait_kmcnt 0x0
	v_or_b32_e32 v4, s29, v6
	s_delay_alu instid0(VALU_DEP_1)
	v_cmpx_ne_u64_e32 0, v[3:4]
	s_wait_alu 0xfffe
	s_xor_b32 s30, exec_lo, s2
	s_cbranch_execz .LBB0_4
; %bb.3:                                ;   in Loop: Header=BB0_2 Depth=1
	s_cvt_f32_u32 s2, s28
	s_cvt_f32_u32 s31, s29
	s_sub_nc_u64 s[36:37], 0, s[28:29]
	s_wait_alu 0xfffe
	s_delay_alu instid0(SALU_CYCLE_1) | instskip(SKIP_1) | instid1(SALU_CYCLE_2)
	s_fmamk_f32 s2, s31, 0x4f800000, s2
	s_wait_alu 0xfffe
	v_s_rcp_f32 s2, s2
	s_delay_alu instid0(TRANS32_DEP_1) | instskip(SKIP_1) | instid1(SALU_CYCLE_2)
	s_mul_f32 s2, s2, 0x5f7ffffc
	s_wait_alu 0xfffe
	s_mul_f32 s31, s2, 0x2f800000
	s_wait_alu 0xfffe
	s_delay_alu instid0(SALU_CYCLE_2) | instskip(SKIP_1) | instid1(SALU_CYCLE_2)
	s_trunc_f32 s31, s31
	s_wait_alu 0xfffe
	s_fmamk_f32 s2, s31, 0xcf800000, s2
	s_cvt_u32_f32 s35, s31
	s_wait_alu 0xfffe
	s_delay_alu instid0(SALU_CYCLE_1) | instskip(SKIP_1) | instid1(SALU_CYCLE_2)
	s_cvt_u32_f32 s34, s2
	s_wait_alu 0xfffe
	s_mul_u64 s[38:39], s[36:37], s[34:35]
	s_wait_alu 0xfffe
	s_mul_hi_u32 s41, s34, s39
	s_mul_i32 s40, s34, s39
	s_mul_hi_u32 s2, s34, s38
	s_mul_i32 s33, s35, s38
	s_wait_alu 0xfffe
	s_add_nc_u64 s[40:41], s[2:3], s[40:41]
	s_mul_hi_u32 s31, s35, s38
	s_mul_hi_u32 s42, s35, s39
	s_add_co_u32 s2, s40, s33
	s_wait_alu 0xfffe
	s_add_co_ci_u32 s2, s41, s31
	s_mul_i32 s38, s35, s39
	s_add_co_ci_u32 s39, s42, 0
	s_wait_alu 0xfffe
	s_add_nc_u64 s[38:39], s[2:3], s[38:39]
	s_wait_alu 0xfffe
	v_add_co_u32 v4, s2, s34, s38
	s_delay_alu instid0(VALU_DEP_1) | instskip(SKIP_1) | instid1(VALU_DEP_1)
	s_cmp_lg_u32 s2, 0
	s_add_co_ci_u32 s35, s35, s39
	v_readfirstlane_b32 s34, v4
	s_wait_alu 0xfffe
	s_delay_alu instid0(VALU_DEP_1)
	s_mul_u64 s[36:37], s[36:37], s[34:35]
	s_wait_alu 0xfffe
	s_mul_hi_u32 s39, s34, s37
	s_mul_i32 s38, s34, s37
	s_mul_hi_u32 s2, s34, s36
	s_mul_i32 s33, s35, s36
	s_wait_alu 0xfffe
	s_add_nc_u64 s[38:39], s[2:3], s[38:39]
	s_mul_hi_u32 s31, s35, s36
	s_mul_hi_u32 s34, s35, s37
	s_wait_alu 0xfffe
	s_add_co_u32 s2, s38, s33
	s_add_co_ci_u32 s2, s39, s31
	s_mul_i32 s36, s35, s37
	s_add_co_ci_u32 s37, s34, 0
	s_wait_alu 0xfffe
	s_add_nc_u64 s[36:37], s[2:3], s[36:37]
	s_wait_alu 0xfffe
	v_add_co_u32 v4, s2, v4, s36
	s_delay_alu instid0(VALU_DEP_1) | instskip(SKIP_1) | instid1(VALU_DEP_1)
	s_cmp_lg_u32 s2, 0
	s_add_co_ci_u32 s2, s35, s37
	v_mul_hi_u32 v13, v5, v4
	s_wait_alu 0xfffe
	v_mad_co_u64_u32 v[7:8], null, v5, s2, 0
	v_mad_co_u64_u32 v[9:10], null, v6, v4, 0
	;; [unrolled: 1-line block ×3, first 2 shown]
	s_delay_alu instid0(VALU_DEP_3) | instskip(SKIP_1) | instid1(VALU_DEP_4)
	v_add_co_u32 v4, vcc_lo, v13, v7
	s_wait_alu 0xfffd
	v_add_co_ci_u32_e32 v7, vcc_lo, 0, v8, vcc_lo
	s_delay_alu instid0(VALU_DEP_2) | instskip(SKIP_1) | instid1(VALU_DEP_2)
	v_add_co_u32 v4, vcc_lo, v4, v9
	s_wait_alu 0xfffd
	v_add_co_ci_u32_e32 v4, vcc_lo, v7, v10, vcc_lo
	s_wait_alu 0xfffd
	v_add_co_ci_u32_e32 v7, vcc_lo, 0, v12, vcc_lo
	s_delay_alu instid0(VALU_DEP_2) | instskip(SKIP_1) | instid1(VALU_DEP_2)
	v_add_co_u32 v4, vcc_lo, v4, v11
	s_wait_alu 0xfffd
	v_add_co_ci_u32_e32 v9, vcc_lo, 0, v7, vcc_lo
	s_delay_alu instid0(VALU_DEP_2) | instskip(SKIP_1) | instid1(VALU_DEP_3)
	v_mul_lo_u32 v10, s29, v4
	v_mad_co_u64_u32 v[7:8], null, s28, v4, 0
	v_mul_lo_u32 v11, s28, v9
	s_delay_alu instid0(VALU_DEP_2) | instskip(NEXT) | instid1(VALU_DEP_2)
	v_sub_co_u32 v7, vcc_lo, v5, v7
	v_add3_u32 v8, v8, v11, v10
	s_delay_alu instid0(VALU_DEP_1) | instskip(SKIP_1) | instid1(VALU_DEP_1)
	v_sub_nc_u32_e32 v10, v6, v8
	s_wait_alu 0xfffd
	v_subrev_co_ci_u32_e64 v10, s2, s29, v10, vcc_lo
	v_add_co_u32 v11, s2, v4, 2
	s_wait_alu 0xf1ff
	v_add_co_ci_u32_e64 v12, s2, 0, v9, s2
	v_sub_co_u32 v13, s2, v7, s28
	v_sub_co_ci_u32_e32 v8, vcc_lo, v6, v8, vcc_lo
	s_wait_alu 0xf1ff
	v_subrev_co_ci_u32_e64 v10, s2, 0, v10, s2
	s_delay_alu instid0(VALU_DEP_3) | instskip(NEXT) | instid1(VALU_DEP_3)
	v_cmp_le_u32_e32 vcc_lo, s28, v13
	v_cmp_eq_u32_e64 s2, s29, v8
	s_wait_alu 0xfffd
	v_cndmask_b32_e64 v13, 0, -1, vcc_lo
	v_cmp_le_u32_e32 vcc_lo, s29, v10
	s_wait_alu 0xfffd
	v_cndmask_b32_e64 v14, 0, -1, vcc_lo
	v_cmp_le_u32_e32 vcc_lo, s28, v7
	;; [unrolled: 3-line block ×3, first 2 shown]
	s_wait_alu 0xfffd
	v_cndmask_b32_e64 v15, 0, -1, vcc_lo
	v_cmp_eq_u32_e32 vcc_lo, s29, v10
	s_wait_alu 0xf1ff
	s_delay_alu instid0(VALU_DEP_2)
	v_cndmask_b32_e64 v7, v15, v7, s2
	s_wait_alu 0xfffd
	v_cndmask_b32_e32 v10, v14, v13, vcc_lo
	v_add_co_u32 v13, vcc_lo, v4, 1
	s_wait_alu 0xfffd
	v_add_co_ci_u32_e32 v14, vcc_lo, 0, v9, vcc_lo
	s_delay_alu instid0(VALU_DEP_3) | instskip(SKIP_1) | instid1(VALU_DEP_2)
	v_cmp_ne_u32_e32 vcc_lo, 0, v10
	s_wait_alu 0xfffd
	v_cndmask_b32_e32 v8, v14, v12, vcc_lo
	v_cndmask_b32_e32 v10, v13, v11, vcc_lo
	v_cmp_ne_u32_e32 vcc_lo, 0, v7
	s_wait_alu 0xfffd
	s_delay_alu instid0(VALU_DEP_2)
	v_dual_cndmask_b32 v105, v9, v8 :: v_dual_cndmask_b32 v104, v4, v10
.LBB0_4:                                ;   in Loop: Header=BB0_2 Depth=1
	s_wait_alu 0xfffe
	s_and_not1_saveexec_b32 s2, s30
	s_cbranch_execz .LBB0_6
; %bb.5:                                ;   in Loop: Header=BB0_2 Depth=1
	v_cvt_f32_u32_e32 v4, s28
	s_sub_co_i32 s30, 0, s28
	v_mov_b32_e32 v105, v3
	s_delay_alu instid0(VALU_DEP_2) | instskip(NEXT) | instid1(TRANS32_DEP_1)
	v_rcp_iflag_f32_e32 v4, v4
	v_mul_f32_e32 v4, 0x4f7ffffe, v4
	s_delay_alu instid0(VALU_DEP_1) | instskip(SKIP_1) | instid1(VALU_DEP_1)
	v_cvt_u32_f32_e32 v4, v4
	s_wait_alu 0xfffe
	v_mul_lo_u32 v7, s30, v4
	s_delay_alu instid0(VALU_DEP_1) | instskip(NEXT) | instid1(VALU_DEP_1)
	v_mul_hi_u32 v7, v4, v7
	v_add_nc_u32_e32 v4, v4, v7
	s_delay_alu instid0(VALU_DEP_1) | instskip(NEXT) | instid1(VALU_DEP_1)
	v_mul_hi_u32 v4, v5, v4
	v_mul_lo_u32 v7, v4, s28
	v_add_nc_u32_e32 v8, 1, v4
	s_delay_alu instid0(VALU_DEP_2) | instskip(NEXT) | instid1(VALU_DEP_1)
	v_sub_nc_u32_e32 v7, v5, v7
	v_subrev_nc_u32_e32 v9, s28, v7
	v_cmp_le_u32_e32 vcc_lo, s28, v7
	s_wait_alu 0xfffd
	s_delay_alu instid0(VALU_DEP_2) | instskip(NEXT) | instid1(VALU_DEP_1)
	v_dual_cndmask_b32 v7, v7, v9 :: v_dual_cndmask_b32 v4, v4, v8
	v_cmp_le_u32_e32 vcc_lo, s28, v7
	s_delay_alu instid0(VALU_DEP_2) | instskip(SKIP_1) | instid1(VALU_DEP_1)
	v_add_nc_u32_e32 v8, 1, v4
	s_wait_alu 0xfffd
	v_cndmask_b32_e32 v104, v4, v8, vcc_lo
.LBB0_6:                                ;   in Loop: Header=BB0_2 Depth=1
	s_wait_alu 0xfffe
	s_or_b32 exec_lo, exec_lo, s2
	v_mul_lo_u32 v4, v105, s28
	s_delay_alu instid0(VALU_DEP_2)
	v_mul_lo_u32 v9, v104, s29
	s_load_b64 s[30:31], s[22:23], 0x0
	v_mad_co_u64_u32 v[7:8], null, v104, s28, 0
	s_load_b64 s[28:29], s[20:21], 0x0
	s_add_nc_u64 s[24:25], s[24:25], 1
	s_add_nc_u64 s[20:21], s[20:21], 8
	s_wait_alu 0xfffe
	v_cmp_ge_u64_e64 s2, s[24:25], s[6:7]
	s_add_nc_u64 s[22:23], s[22:23], 8
	s_add_nc_u64 s[26:27], s[26:27], 8
	v_add3_u32 v4, v8, v9, v4
	v_sub_co_u32 v5, vcc_lo, v5, v7
	s_wait_alu 0xfffd
	s_delay_alu instid0(VALU_DEP_2) | instskip(SKIP_2) | instid1(VALU_DEP_1)
	v_sub_co_ci_u32_e32 v4, vcc_lo, v6, v4, vcc_lo
	s_and_b32 vcc_lo, exec_lo, s2
	s_wait_kmcnt 0x0
	v_mul_lo_u32 v6, s30, v4
	v_mul_lo_u32 v7, s31, v5
	v_mad_co_u64_u32 v[1:2], null, s30, v5, v[1:2]
	v_mul_lo_u32 v4, s28, v4
	v_mul_lo_u32 v8, s29, v5
	v_mad_co_u64_u32 v[102:103], null, s28, v5, v[102:103]
	s_delay_alu instid0(VALU_DEP_4) | instskip(NEXT) | instid1(VALU_DEP_2)
	v_add3_u32 v2, v7, v2, v6
	v_add3_u32 v103, v8, v103, v4
	s_wait_alu 0xfffe
	s_cbranch_vccnz .LBB0_9
; %bb.7:                                ;   in Loop: Header=BB0_2 Depth=1
	v_dual_mov_b32 v5, v104 :: v_dual_mov_b32 v6, v105
	s_branch .LBB0_2
.LBB0_8:
	s_delay_alu instid0(VALU_DEP_2) | instskip(NEXT) | instid1(VALU_DEP_2)
	v_dual_mov_b32 v103, v2 :: v_dual_mov_b32 v102, v1
	v_dual_mov_b32 v105, v6 :: v_dual_mov_b32 v104, v5
.LBB0_9:
	s_load_b64 s[0:1], s[0:1], 0x28
	v_mul_hi_u32 v3, 0x1e1e1e2, v0
	s_lshl_b64 s[2:3], s[6:7], 3
                                        ; implicit-def: $vgpr48_vgpr49
                                        ; implicit-def: $vgpr56_vgpr57
                                        ; implicit-def: $vgpr60_vgpr61
                                        ; implicit-def: $vgpr76_vgpr77
                                        ; implicit-def: $vgpr40_vgpr41
                                        ; implicit-def: $vgpr36_vgpr37
                                        ; implicit-def: $vgpr32_vgpr33
                                        ; implicit-def: $vgpr20_vgpr21
                                        ; implicit-def: $vgpr12_vgpr13
                                        ; implicit-def: $vgpr16_vgpr17
                                        ; implicit-def: $vgpr28_vgpr29
                                        ; implicit-def: $vgpr44_vgpr45
                                        ; implicit-def: $vgpr52_vgpr53
                                        ; implicit-def: $vgpr64_vgpr65
                                        ; implicit-def: $vgpr68_vgpr69
                                        ; implicit-def: $vgpr72_vgpr73
                                        ; implicit-def: $vgpr24_vgpr25
	s_delay_alu instid0(VALU_DEP_1) | instskip(NEXT) | instid1(VALU_DEP_1)
	v_mul_u32_u24_e32 v3, 0x88, v3
	v_sub_nc_u32_e32 v158, v0, v3
	s_wait_kmcnt 0x0
	v_cmp_gt_u64_e32 vcc_lo, s[0:1], v[104:105]
	s_delay_alu instid0(VALU_DEP_2) | instskip(NEXT) | instid1(VALU_DEP_1)
	v_cmp_gt_u32_e64 s0, 0x68, v158
	s_and_b32 s1, vcc_lo, s0
	s_wait_alu 0xfffe
	s_and_saveexec_b32 s6, s1
	s_cbranch_execz .LBB0_11
; %bb.10:
	s_add_nc_u64 s[12:13], s[12:13], s[2:3]
	v_mad_co_u64_u32 v[3:4], null, s18, v158, 0
	s_load_b64 s[12:13], s[12:13], 0x0
	v_add_nc_u32_e32 v15, 0x68, v158
	v_add_nc_u32_e32 v16, 0xd0, v158
	s_delay_alu instid0(VALU_DEP_3) | instskip(NEXT) | instid1(VALU_DEP_3)
	v_mov_b32_e32 v0, v4
	v_mad_co_u64_u32 v[5:6], null, s18, v15, 0
	s_delay_alu instid0(VALU_DEP_3) | instskip(NEXT) | instid1(VALU_DEP_3)
	v_mad_co_u64_u32 v[7:8], null, s18, v16, 0
	v_mad_co_u64_u32 v[13:14], null, s19, v158, v[0:1]
	v_add_nc_u32_e32 v17, 0x138, v158
	v_lshlrev_b64_e32 v[0:1], 4, v[1:2]
	v_dual_mov_b32 v2, v6 :: v_dual_add_nc_u32 v19, 0x1a0, v158
	v_mov_b32_e32 v6, v8
	s_delay_alu instid0(VALU_DEP_4) | instskip(SKIP_4) | instid1(VALU_DEP_1)
	v_mad_co_u64_u32 v[11:12], null, s18, v17, 0
	s_wait_kmcnt 0x0
	v_mul_lo_u32 v4, s13, v104
	v_mul_lo_u32 v18, s12, v105
	v_mad_co_u64_u32 v[9:10], null, s12, v104, 0
	v_add3_u32 v10, v10, v18, v4
	v_mov_b32_e32 v4, v13
	v_mad_co_u64_u32 v[13:14], null, s19, v15, v[2:3]
	v_mad_co_u64_u32 v[14:15], null, s19, v16, v[6:7]
	v_add_nc_u32_e32 v15, 0x270, v158
	v_lshlrev_b64_e32 v[8:9], 4, v[9:10]
	v_lshlrev_b64_e32 v[2:3], 4, v[3:4]
	v_add_nc_u32_e32 v16, 0x2d8, v158
	v_mov_b32_e32 v6, v13
	s_delay_alu instid0(VALU_DEP_4) | instskip(SKIP_3) | instid1(VALU_DEP_3)
	v_add_co_u32 v4, s1, s8, v8
	s_wait_alu 0xf1ff
	v_add_co_ci_u32_e64 v8, s1, s9, v9, s1
	v_mad_co_u64_u32 v[9:10], null, s19, v17, v[12:13]
	v_add_co_u32 v18, s1, v4, v0
	s_wait_alu 0xf1ff
	s_delay_alu instid0(VALU_DEP_3) | instskip(SKIP_1) | instid1(VALU_DEP_3)
	v_add_co_ci_u32_e64 v20, s1, v8, v1, s1
	v_lshlrev_b64_e32 v[0:1], 4, v[5:6]
	v_add_co_u32 v2, s1, v18, v2
	v_mad_co_u64_u32 v[4:5], null, s18, v19, 0
	s_wait_alu 0xf1ff
	v_add_co_ci_u32_e64 v3, s1, v20, v3, s1
	s_delay_alu instid0(VALU_DEP_4)
	v_add_co_u32 v0, s1, v18, v0
	v_mov_b32_e32 v8, v14
	v_add_nc_u32_e32 v10, 0x208, v158
	s_wait_alu 0xf1ff
	v_add_co_ci_u32_e64 v1, s1, v20, v1, s1
	s_clause 0x1
	global_load_b128 v[22:25], v[2:3], off
	global_load_b128 v[46:49], v[0:1], off
	v_lshlrev_b64_e32 v[0:1], 4, v[7:8]
	v_dual_mov_b32 v2, v5 :: v_dual_add_nc_u32 v17, 0x340, v158
	v_mad_co_u64_u32 v[6:7], null, s18, v10, 0
	v_mov_b32_e32 v12, v9
	s_delay_alu instid0(VALU_DEP_3)
	v_mad_co_u64_u32 v[2:3], null, s19, v19, v[2:3]
	v_add_co_u32 v0, s1, v18, v0
	s_wait_alu 0xf1ff
	v_add_co_ci_u32_e64 v1, s1, v20, v1, s1
	v_mov_b32_e32 v3, v7
	v_lshlrev_b64_e32 v[7:8], 4, v[11:12]
	v_mov_b32_e32 v5, v2
	v_mad_co_u64_u32 v[13:14], null, s18, v16, 0
	s_delay_alu instid0(VALU_DEP_4) | instskip(SKIP_4) | instid1(VALU_DEP_4)
	v_mad_co_u64_u32 v[2:3], null, s19, v10, v[3:4]
	v_mad_co_u64_u32 v[9:10], null, s18, v15, 0
	v_add_co_u32 v11, s1, v18, v7
	s_wait_alu 0xf1ff
	v_add_co_ci_u32_e64 v12, s1, v20, v8, s1
	v_mov_b32_e32 v7, v2
	v_lshlrev_b64_e32 v[2:3], 4, v[4:5]
	v_mov_b32_e32 v4, v10
	v_or_b32_e32 v19, 0x680, v158
	s_delay_alu instid0(VALU_DEP_4) | instskip(NEXT) | instid1(VALU_DEP_4)
	v_lshlrev_b64_e32 v[5:6], 4, v[6:7]
	v_add_co_u32 v2, s1, v18, v2
	s_wait_alu 0xf1ff
	v_add_co_ci_u32_e64 v3, s1, v20, v3, s1
	s_delay_alu instid0(VALU_DEP_3)
	v_mad_co_u64_u32 v[7:8], null, s19, v15, v[4:5]
	v_mov_b32_e32 v4, v14
	v_add_co_u32 v5, s1, v18, v5
	s_wait_alu 0xf1ff
	v_add_co_ci_u32_e64 v6, s1, v20, v6, s1
	s_clause 0x3
	global_load_b128 v[70:73], v[0:1], off
	global_load_b128 v[54:57], v[11:12], off
	;; [unrolled: 1-line block ×4, first 2 shown]
	v_mov_b32_e32 v10, v7
	v_mad_co_u64_u32 v[7:8], null, s19, v16, v[4:5]
	v_mad_co_u64_u32 v[15:16], null, s18, v17, 0
	v_add_nc_u32_e32 v11, 0x3a8, v158
	s_delay_alu instid0(VALU_DEP_4) | instskip(SKIP_2) | instid1(VALU_DEP_4)
	v_lshlrev_b64_e32 v[0:1], 4, v[9:10]
	v_add_nc_u32_e32 v12, 0x410, v158
	v_mov_b32_e32 v14, v7
	v_mad_co_u64_u32 v[3:4], null, s18, v11, 0
	v_mov_b32_e32 v2, v16
	v_add_co_u32 v0, s1, v18, v0
	s_delay_alu instid0(VALU_DEP_4) | instskip(SKIP_4) | instid1(VALU_DEP_4)
	v_lshlrev_b64_e32 v[5:6], 4, v[13:14]
	s_wait_alu 0xf1ff
	v_add_co_ci_u32_e64 v1, s1, v20, v1, s1
	v_mad_co_u64_u32 v[7:8], null, s19, v17, v[2:3]
	v_mov_b32_e32 v2, v4
	v_add_co_u32 v4, s1, v18, v5
	v_mad_co_u64_u32 v[8:9], null, s18, v12, 0
	s_wait_alu 0xf1ff
	v_add_co_ci_u32_e64 v5, s1, v20, v6, s1
	v_mov_b32_e32 v16, v7
	v_mad_co_u64_u32 v[6:7], null, s19, v11, v[2:3]
	v_add_nc_u32_e32 v14, 0x478, v158
	v_mov_b32_e32 v2, v9
	s_clause 0x1
	global_load_b128 v[74:77], v[0:1], off
	global_load_b128 v[62:65], v[4:5], off
	v_lshlrev_b64_e32 v[0:1], 4, v[15:16]
	v_add_nc_u32_e32 v16, 0x5b0, v158
	v_mad_co_u64_u32 v[10:11], null, s18, v14, 0
	v_mov_b32_e32 v4, v6
	v_mad_co_u64_u32 v[12:13], null, s19, v12, v[2:3]
	v_add_co_u32 v0, s1, v18, v0
	s_delay_alu instid0(VALU_DEP_3) | instskip(SKIP_4) | instid1(VALU_DEP_3)
	v_lshlrev_b64_e32 v[3:4], 4, v[3:4]
	v_mov_b32_e32 v2, v11
	s_wait_alu 0xf1ff
	v_add_co_ci_u32_e64 v1, s1, v20, v1, s1
	v_dual_mov_b32 v9, v12 :: v_dual_add_nc_u32 v12, 0x4e0, v158
	v_mad_co_u64_u32 v[5:6], null, s19, v14, v[2:3]
	v_add_co_u32 v2, s1, v18, v3
	s_delay_alu instid0(VALU_DEP_3) | instskip(NEXT) | instid1(VALU_DEP_4)
	v_lshlrev_b64_e32 v[6:7], 4, v[8:9]
	v_mad_co_u64_u32 v[8:9], null, s18, v12, 0
	s_wait_alu 0xf1ff
	v_add_co_ci_u32_e64 v3, s1, v20, v4, s1
	v_mov_b32_e32 v11, v5
	s_clause 0x1
	global_load_b128 v[50:53], v[0:1], off
	global_load_b128 v[38:41], v[2:3], off
	v_add_nc_u32_e32 v14, 0x548, v158
	v_mov_b32_e32 v2, v9
	v_lshlrev_b64_e32 v[3:4], 4, v[10:11]
	v_add_co_u32 v0, s1, v18, v6
	s_wait_alu 0xf1ff
	v_add_co_ci_u32_e64 v1, s1, v20, v7, s1
	v_mad_co_u64_u32 v[10:11], null, s18, v16, 0
	s_delay_alu instid0(VALU_DEP_4)
	v_mad_co_u64_u32 v[5:6], null, s19, v12, v[2:3]
	v_mad_co_u64_u32 v[6:7], null, s18, v14, 0
	v_add_nc_u32_e32 v17, 0x618, v158
	v_add_co_u32 v2, s1, v18, v3
	s_wait_alu 0xf1ff
	v_add_co_ci_u32_e64 v3, s1, v20, v4, s1
	s_delay_alu instid0(VALU_DEP_4)
	v_dual_mov_b32 v9, v5 :: v_dual_mov_b32 v4, v7
	v_mov_b32_e32 v5, v11
	v_mad_co_u64_u32 v[12:13], null, s18, v17, 0
	s_clause 0x1
	global_load_b128 v[42:45], v[0:1], off
	global_load_b128 v[34:37], v[2:3], off
	v_lshlrev_b64_e32 v[1:2], 4, v[8:9]
	v_mad_co_u64_u32 v[14:15], null, s19, v14, v[4:5]
	v_mad_co_u64_u32 v[4:5], null, s19, v16, v[5:6]
	;; [unrolled: 1-line block ×3, first 2 shown]
	s_delay_alu instid0(VALU_DEP_3) | instskip(NEXT) | instid1(VALU_DEP_3)
	v_dual_mov_b32 v0, v13 :: v_dual_mov_b32 v7, v14
	v_mov_b32_e32 v11, v4
	s_delay_alu instid0(VALU_DEP_2) | instskip(NEXT) | instid1(VALU_DEP_4)
	v_mad_co_u64_u32 v[3:4], null, s19, v17, v[0:1]
	v_mov_b32_e32 v0, v16
	v_add_co_u32 v1, s1, v18, v1
	v_lshlrev_b64_e32 v[4:5], 4, v[6:7]
	s_wait_alu 0xf1ff
	v_add_co_ci_u32_e64 v2, s1, v20, v2, s1
	s_delay_alu instid0(VALU_DEP_3)
	v_mad_co_u64_u32 v[6:7], null, s19, v19, v[0:1]
	v_lshlrev_b64_e32 v[7:8], 4, v[10:11]
	v_mov_b32_e32 v13, v3
	v_add_co_u32 v3, s1, v18, v4
	s_wait_alu 0xf1ff
	v_add_co_ci_u32_e64 v4, s1, v20, v5, s1
	v_mov_b32_e32 v16, v6
	v_lshlrev_b64_e32 v[9:10], 4, v[12:13]
	v_add_co_u32 v5, s1, v18, v7
	s_wait_alu 0xf1ff
	v_add_co_ci_u32_e64 v6, s1, v20, v8, s1
	v_lshlrev_b64_e32 v[7:8], 4, v[15:16]
	s_delay_alu instid0(VALU_DEP_4) | instskip(SKIP_2) | instid1(VALU_DEP_3)
	v_add_co_u32 v9, s1, v18, v9
	s_wait_alu 0xf1ff
	v_add_co_ci_u32_e64 v10, s1, v20, v10, s1
	v_add_co_u32 v7, s1, v18, v7
	s_wait_alu 0xf1ff
	v_add_co_ci_u32_e64 v8, s1, v20, v8, s1
	s_clause 0x4
	global_load_b128 v[30:33], v[1:2], off
	global_load_b128 v[26:29], v[3:4], off
	global_load_b128 v[18:21], v[5:6], off
	global_load_b128 v[14:17], v[9:10], off
	global_load_b128 v[10:13], v[7:8], off
.LBB0_11:
	s_wait_alu 0xfffe
	s_or_b32 exec_lo, exec_lo, s6
	s_wait_loadcnt 0x0
	v_add_f64_e64 v[4:5], v[48:49], -v[12:13]
	s_mov_b32 s30, 0x2a9d6da3
	s_mov_b32 s28, 0x7c9e640b
	;; [unrolled: 1-line block ×6, first 2 shown]
	v_add_f64_e32 v[78:79], v[46:47], v[10:11]
	v_add_f64_e64 v[8:9], v[72:73], -v[16:17]
	s_mov_b32 s6, 0x75d4884
	s_mov_b32 s12, 0x2b2883cd
	;; [unrolled: 1-line block ×10, first 2 shown]
	v_add_f64_e32 v[152:153], v[14:15], v[70:71]
	v_add_f64_e64 v[128:129], v[56:57], -v[20:21]
	s_mov_b32 s22, 0x6ed5f1bb
	s_mov_b32 s34, 0x7faef3
	;; [unrolled: 1-line block ×8, first 2 shown]
	v_add_f64_e32 v[154:155], v[54:55], v[18:19]
	v_add_f64_e64 v[118:119], v[60:61], -v[28:29]
	s_mov_b32 s24, 0xc61f0d01
	s_mov_b32 s36, 0x5d8e7cdc
	;; [unrolled: 1-line block ×4, first 2 shown]
	v_add_f64_e32 v[138:139], v[58:59], v[26:27]
	v_add_f64_e64 v[112:113], v[68:69], -v[32:33]
	s_mov_b32 s54, 0x4363dd80
	s_wait_alu 0xfffe
	v_mul_f64_e32 v[82:83], s[30:31], v[4:5]
	v_mul_f64_e32 v[86:87], s[28:29], v[4:5]
	;; [unrolled: 1-line block ×3, first 2 shown]
	s_mov_b32 s8, 0x370991
	s_mov_b32 s55, 0x3fe0d888
	;; [unrolled: 1-line block ×5, first 2 shown]
	v_mul_f64_e32 v[140:141], s[26:27], v[8:9]
	v_mul_f64_e32 v[142:143], s[50:51], v[8:9]
	;; [unrolled: 1-line block ×3, first 2 shown]
	v_add_f64_e32 v[132:133], v[30:31], v[66:67]
	v_add_f64_e64 v[100:101], v[76:77], -v[36:37]
	s_mov_b32 s18, 0x910ea3b9
	s_mov_b32 s19, 0xbfeb34fa
	;; [unrolled: 1-line block ×6, first 2 shown]
	v_add_f64_e32 v[126:127], v[74:75], v[34:35]
	v_mul_f64_e32 v[144:145], s[50:51], v[128:129]
	v_mul_f64_e32 v[148:149], s[56:57], v[128:129]
	;; [unrolled: 1-line block ×3, first 2 shown]
	s_mov_b32 s47, 0x3feca52d
	s_mov_b32 s49, 0x3fe9895b
	;; [unrolled: 1-line block ×4, first 2 shown]
	v_add_f64_e32 v[116:117], v[42:43], v[62:63]
	v_mul_f64_e32 v[130:131], s[44:45], v[118:119]
	v_mul_f64_e32 v[134:135], s[40:41], v[118:119]
	;; [unrolled: 1-line block ×4, first 2 shown]
	s_wait_alu 0xfffe
	v_mul_f64_e32 v[122:123], s[38:39], v[112:113]
	v_fma_f64 v[0:1], v[78:79], s[6:7], -v[82:83]
	v_fma_f64 v[2:3], v[78:79], s[12:13], -v[86:87]
	v_fma_f64 v[6:7], v[78:79], s[20:21], -v[150:151]
	v_mul_f64_e32 v[124:125], s[28:29], v[112:113]
	v_fma_f64 v[80:81], v[152:153], s[20:21], -v[140:141]
	v_fma_f64 v[84:85], v[152:153], s[22:23], -v[142:143]
	;; [unrolled: 1-line block ×3, first 2 shown]
	v_mul_f64_e32 v[108:109], s[40:41], v[100:101]
	v_mul_f64_e32 v[110:111], s[52:53], v[100:101]
	;; [unrolled: 1-line block ×3, first 2 shown]
	v_fma_f64 v[90:91], v[154:155], s[22:23], -v[144:145]
	v_fma_f64 v[92:93], v[154:155], s[34:35], -v[148:149]
	;; [unrolled: 1-line block ×4, first 2 shown]
	v_add_f64_e32 v[0:1], v[0:1], v[22:23]
	v_add_f64_e32 v[2:3], v[2:3], v[22:23]
	;; [unrolled: 1-line block ×3, first 2 shown]
	v_fma_f64 v[106:107], v[132:133], s[12:13], -v[124:125]
	v_fma_f64 v[159:160], v[126:127], s[24:25], -v[108:109]
	;; [unrolled: 1-line block ×4, first 2 shown]
	v_add_f64_e32 v[0:1], v[80:81], v[0:1]
	v_add_f64_e32 v[2:3], v[84:85], v[2:3]
	;; [unrolled: 1-line block ×3, first 2 shown]
	v_fma_f64 v[80:81], v[138:139], s[34:35], -v[130:131]
	v_fma_f64 v[88:89], v[138:139], s[24:25], -v[134:135]
	v_add_f64_e64 v[84:85], v[64:65], -v[44:45]
	v_add_f64_e32 v[0:1], v[90:91], v[0:1]
	v_add_f64_e32 v[2:3], v[92:93], v[2:3]
	v_add_f64_e32 v[6:7], v[94:95], v[6:7]
	v_fma_f64 v[90:91], v[132:133], s[18:19], -v[120:121]
	v_fma_f64 v[92:93], v[132:133], s[6:7], -v[122:123]
	v_mul_f64_e32 v[94:95], s[46:47], v[84:85]
	v_mul_f64_e32 v[98:99], s[48:49], v[84:85]
	v_add_f64_e32 v[0:1], v[80:81], v[0:1]
	v_add_f64_e32 v[2:3], v[88:89], v[2:3]
	;; [unrolled: 1-line block ×3, first 2 shown]
	v_add_f64_e64 v[80:81], v[52:53], -v[40:41]
	v_mul_f64_e32 v[96:97], s[26:27], v[84:85]
	v_fma_f64 v[165:166], v[116:117], s[12:13], -v[94:95]
	v_fma_f64 v[169:170], v[116:117], s[22:23], -v[98:99]
	v_add_f64_e32 v[0:1], v[90:91], v[0:1]
	v_add_f64_e32 v[2:3], v[92:93], v[2:3]
	;; [unrolled: 1-line block ×4, first 2 shown]
	v_mul_f64_e32 v[88:89], s[36:37], v[80:81]
	v_mul_f64_e32 v[90:91], s[42:43], v[80:81]
	v_mul_f64_e32 v[92:93], s[38:39], v[80:81]
	v_fma_f64 v[167:168], v[116:117], s[20:21], -v[96:97]
	v_add_f64_e32 v[0:1], v[159:160], v[0:1]
	v_add_f64_e32 v[2:3], v[161:162], v[2:3]
	;; [unrolled: 1-line block ×3, first 2 shown]
	v_fma_f64 v[159:160], v[106:107], s[8:9], -v[88:89]
	v_fma_f64 v[161:162], v[106:107], s[18:19], -v[90:91]
	;; [unrolled: 1-line block ×3, first 2 shown]
	v_add_f64_e32 v[0:1], v[165:166], v[0:1]
	v_add_f64_e32 v[165:166], v[167:168], v[2:3]
	;; [unrolled: 1-line block ×3, first 2 shown]
	s_delay_alu instid0(VALU_DEP_3) | instskip(NEXT) | instid1(VALU_DEP_3)
	v_add_f64_e32 v[2:3], v[159:160], v[0:1]
	v_add_f64_e32 v[0:1], v[161:162], v[165:166]
	s_delay_alu instid0(VALU_DEP_3)
	v_add_f64_e32 v[6:7], v[163:164], v[6:7]
	s_and_saveexec_b32 s1, s0
	s_cbranch_execz .LBB0_13
; %bb.12:
	v_add_f64_e32 v[159:160], v[46:47], v[22:23]
	v_mul_f64_e32 v[161:162], s[34:35], v[78:79]
	v_mul_f64_e32 v[163:164], s[18:19], v[78:79]
	v_mul_f64_e32 v[165:166], s[24:25], v[78:79]
	v_mul_f64_e32 v[167:168], s[20:21], v[78:79]
	v_mul_f64_e32 v[169:170], s[22:23], v[78:79]
	v_mul_f64_e32 v[171:172], s[12:13], v[78:79]
	v_mul_f64_e32 v[173:174], s[8:9], v[78:79]
	v_mul_f64_e32 v[78:79], s[6:7], v[78:79]
	s_mov_b32 s59, 0xbfeec746
	s_mov_b32 s58, s40
	v_mul_f64_e32 v[175:176], s[24:25], v[154:155]
	v_mul_f64_e32 v[177:178], s[34:35], v[152:153]
	;; [unrolled: 1-line block ×13, first 2 shown]
	s_mov_b32 s61, 0x3fefdd0d
	s_mov_b32 s60, s26
	v_mul_f64_e32 v[207:208], s[8:9], v[154:155]
	v_mul_f64_e32 v[205:206], s[8:9], v[138:139]
	v_add_f64_e32 v[159:160], v[70:71], v[159:160]
	v_fma_f64 v[181:182], v[4:5], s[56:57], v[161:162]
	v_fma_f64 v[161:162], v[4:5], s[44:45], v[161:162]
	;; [unrolled: 1-line block ×5, first 2 shown]
	v_add_f64_e32 v[150:151], v[150:151], v[167:168]
	v_fma_f64 v[167:168], v[4:5], s[50:51], v[169:170]
	v_fma_f64 v[169:170], v[4:5], s[48:49], v[169:170]
	;; [unrolled: 1-line block ×3, first 2 shown]
	v_add_f64_e32 v[86:87], v[86:87], v[171:172]
	v_add_f64_e32 v[78:79], v[82:83], v[78:79]
	v_fma_f64 v[171:172], v[4:5], s[52:53], v[173:174]
	v_fma_f64 v[4:5], v[4:5], s[36:37], v[173:174]
	v_add_f64_e32 v[156:157], v[156:157], v[175:176]
	v_add_f64_e32 v[146:147], v[146:147], v[177:178]
	v_fma_f64 v[173:174], v[8:9], s[52:53], v[179:180]
	v_fma_f64 v[177:178], v[8:9], s[36:37], v[179:180]
	;; [unrolled: 1-line block ×4, first 2 shown]
	v_add_f64_e32 v[148:149], v[148:149], v[191:192]
	v_add_f64_e32 v[142:143], v[142:143], v[193:194]
	;; [unrolled: 1-line block ×4, first 2 shown]
	v_fma_f64 v[191:192], v[128:129], s[54:55], v[199:200]
	v_fma_f64 v[193:194], v[128:129], s[42:43], v[199:200]
	;; [unrolled: 1-line block ×7, first 2 shown]
	v_add_f64_e32 v[136:137], v[136:137], v[205:206]
	v_add_f64_e32 v[159:160], v[54:55], v[159:160]
	;; [unrolled: 1-line block ×6, first 2 shown]
	v_fma_f64 v[185:186], v[8:9], s[54:55], v[187:188]
	v_add_f64_e32 v[189:190], v[189:190], v[22:23]
	v_add_f64_e32 v[150:151], v[150:151], v[22:23]
	v_fma_f64 v[187:188], v[8:9], s[42:43], v[187:188]
	v_fma_f64 v[8:9], v[8:9], s[30:31], v[152:153]
	v_add_f64_e32 v[152:153], v[167:168], v[22:23]
	v_add_f64_e32 v[167:168], v[169:170], v[22:23]
	;; [unrolled: 1-line block ×7, first 2 shown]
	v_fma_f64 v[22:23], v[128:129], s[36:37], v[207:208]
	v_fma_f64 v[171:172], v[128:129], s[52:53], v[207:208]
	v_add_f64_e32 v[159:160], v[58:59], v[159:160]
	v_add_f64_e32 v[173:174], v[173:174], v[175:176]
	v_mul_f64_e32 v[175:176], s[34:35], v[138:139]
	v_add_f64_e32 v[161:162], v[177:178], v[161:162]
	v_mul_f64_e32 v[177:178], s[6:7], v[138:139]
	;; [unrolled: 2-line block ×5, first 2 shown]
	v_add_f64_e32 v[146:147], v[146:147], v[150:151]
	v_add_f64_e32 v[150:151], v[201:202], v[152:153]
	;; [unrolled: 1-line block ×8, first 2 shown]
	v_mul_f64_e32 v[140:141], s[12:13], v[132:133]
	v_mul_f64_e32 v[142:143], s[6:7], v[132:133]
	;; [unrolled: 1-line block ×6, first 2 shown]
	v_add_f64_e32 v[159:160], v[66:67], v[159:160]
	v_add_f64_e32 v[173:174], v[191:192], v[173:174]
	;; [unrolled: 1-line block ×4, first 2 shown]
	v_fma_f64 v[175:176], v[118:119], s[38:39], v[177:178]
	v_add_f64_e32 v[179:180], v[195:196], v[179:180]
	v_add_f64_e32 v[163:164], v[197:198], v[163:164]
	v_fma_f64 v[201:202], v[118:119], s[54:55], v[183:184]
	v_fma_f64 v[183:184], v[118:119], s[42:43], v[183:184]
	v_fma_f64 v[203:204], v[118:119], s[46:47], v[189:190]
	v_fma_f64 v[189:190], v[118:119], s[28:29], v[189:190]
	v_add_f64_e32 v[146:147], v[156:157], v[146:147]
	v_add_f64_e32 v[150:151], v[171:172], v[150:151]
	;; [unrolled: 1-line block ×5, first 2 shown]
	v_mul_f64_e32 v[144:145], s[8:9], v[126:127]
	v_mul_f64_e32 v[148:149], s[24:25], v[126:127]
	v_mul_f64_e32 v[156:157], s[12:13], v[126:127]
	v_mul_f64_e32 v[171:172], s[6:7], v[126:127]
	v_add_f64_e32 v[124:125], v[124:125], v[140:141]
	v_add_f64_e32 v[122:123], v[122:123], v[142:143]
	;; [unrolled: 1-line block ×3, first 2 shown]
	v_fma_f64 v[140:141], v[112:113], s[48:49], v[169:170]
	v_fma_f64 v[142:143], v[112:113], s[50:51], v[169:170]
	;; [unrolled: 1-line block ×6, first 2 shown]
	v_add_f64_e32 v[159:160], v[74:75], v[159:160]
	v_add_f64_e32 v[136:137], v[136:137], v[146:147]
	;; [unrolled: 1-line block ×5, first 2 shown]
	v_mul_f64_e32 v[130:131], s[20:21], v[116:117]
	v_add_f64_e32 v[110:111], v[110:111], v[144:145]
	v_add_f64_e32 v[108:109], v[108:109], v[148:149]
	v_fma_f64 v[144:145], v[100:101], s[46:47], v[156:157]
	v_add_f64_e32 v[159:160], v[62:63], v[159:160]
	v_add_f64_e32 v[124:125], v[124:125], v[136:137]
	;; [unrolled: 1-line block ×5, first 2 shown]
	v_mul_f64_e32 v[120:121], s[20:21], v[106:107]
	v_add_f64_e32 v[96:97], v[96:97], v[130:131]
	v_add_f64_e32 v[82:83], v[50:51], v[159:160]
	v_mul_f64_e32 v[159:160], s[6:7], v[154:155]
	v_mul_f64_e32 v[154:155], s[12:13], v[154:155]
	v_add_f64_e32 v[78:79], v[108:109], v[78:79]
	v_fma_f64 v[108:109], v[80:81], s[60:61], v[120:121]
	v_add_f64_e32 v[82:83], v[38:39], v[82:83]
	v_fma_f64 v[207:208], v[128:129], s[30:31], v[159:160]
	v_fma_f64 v[159:160], v[128:129], s[38:39], v[159:160]
	;; [unrolled: 1-line block ×4, first 2 shown]
	v_mul_f64_e32 v[154:155], s[24:25], v[138:139]
	v_mul_f64_e32 v[138:139], s[20:21], v[138:139]
	v_add_f64_e32 v[82:83], v[42:43], v[82:83]
	v_add_f64_e32 v[152:153], v[207:208], v[165:166]
	;; [unrolled: 1-line block ×6, first 2 shown]
	v_fma_f64 v[154:155], v[118:119], s[30:31], v[177:178]
	v_fma_f64 v[177:178], v[118:119], s[50:51], v[181:182]
	;; [unrolled: 1-line block ×5, first 2 shown]
	v_mul_f64_e32 v[138:139], s[34:35], v[132:133]
	v_mul_f64_e32 v[132:133], s[24:25], v[132:133]
	v_mul_f64_e32 v[128:129], s[18:19], v[126:127]
	v_mul_f64_e32 v[165:166], s[34:35], v[126:127]
	v_mul_f64_e32 v[185:186], s[20:21], v[126:127]
	v_mul_f64_e32 v[126:127], s[22:23], v[126:127]
	v_add_f64_e32 v[82:83], v[34:35], v[82:83]
	v_add_f64_e32 v[150:151], v[203:204], v[152:153]
	;; [unrolled: 1-line block ×3, first 2 shown]
	v_mul_f64_e32 v[152:153], s[24:25], v[116:117]
	v_add_f64_e32 v[86:87], v[134:135], v[86:87]
	v_mul_f64_e32 v[134:135], s[12:13], v[116:117]
	v_add_f64_e32 v[163:164], v[181:182], v[163:164]
	v_add_f64_e32 v[4:5], v[205:206], v[4:5]
	v_add_f64_e32 v[8:9], v[118:119], v[8:9]
	v_fma_f64 v[193:194], v[112:113], s[56:57], v[138:139]
	v_fma_f64 v[138:139], v[112:113], s[44:45], v[138:139]
	;; [unrolled: 1-line block ×4, first 2 shown]
	v_add_f64_e32 v[132:133], v[154:155], v[173:174]
	v_add_f64_e32 v[154:155], v[175:176], v[161:162]
	;; [unrolled: 1-line block ×3, first 2 shown]
	v_mul_f64_e32 v[118:119], s[22:23], v[116:117]
	v_mul_f64_e32 v[173:174], s[6:7], v[116:117]
	;; [unrolled: 1-line block ×5, first 2 shown]
	v_add_f64_e32 v[114:115], v[114:115], v[128:129]
	v_fma_f64 v[128:129], v[100:101], s[28:29], v[156:157]
	v_fma_f64 v[148:149], v[100:101], s[56:57], v[165:166]
	;; [unrolled: 1-line block ×9, first 2 shown]
	v_add_f64_e32 v[82:83], v[30:31], v[82:83]
	v_fma_f64 v[130:131], v[84:85], s[58:59], v[152:153]
	v_add_f64_e32 v[86:87], v[122:123], v[86:87]
	v_mul_f64_e32 v[122:123], s[24:25], v[106:107]
	v_add_f64_e32 v[94:95], v[94:95], v[134:135]
	v_add_f64_e32 v[146:147], v[193:194], v[150:151]
	;; [unrolled: 1-line block ×9, first 2 shown]
	v_mul_f64_e32 v[112:113], s[18:19], v[106:107]
	v_mul_f64_e32 v[150:151], s[12:13], v[106:107]
	;; [unrolled: 1-line block ×6, first 2 shown]
	v_add_f64_e32 v[98:99], v[98:99], v[118:119]
	v_fma_f64 v[118:119], v[84:85], s[40:41], v[152:153]
	v_fma_f64 v[134:135], v[84:85], s[30:31], v[173:174]
	;; [unrolled: 1-line block ×9, first 2 shown]
	v_add_f64_e32 v[114:115], v[114:115], v[124:125]
	v_add_f64_e32 v[124:125], v[171:172], v[136:137]
	;; [unrolled: 1-line block ×5, first 2 shown]
	v_fma_f64 v[110:111], v[80:81], s[40:41], v[122:123]
	v_add_f64_e32 v[78:79], v[94:95], v[78:79]
	v_add_f64_e32 v[136:137], v[179:180], v[146:147]
	;; [unrolled: 1-line block ×9, first 2 shown]
	v_fma_f64 v[100:101], v[80:81], s[26:27], v[120:121]
	v_fma_f64 v[120:121], v[80:81], s[58:59], v[122:123]
	;; [unrolled: 1-line block ×6, first 2 shown]
	v_add_f64_e32 v[92:93], v[92:93], v[159:160]
	v_add_f64_e32 v[90:91], v[90:91], v[112:113]
	v_fma_f64 v[112:113], v[80:81], s[56:57], v[106:107]
	v_fma_f64 v[80:81], v[80:81], s[44:45], v[106:107]
	v_add_f64_e32 v[88:89], v[88:89], v[161:162]
	v_add_f64_e32 v[98:99], v[98:99], v[114:115]
	;; [unrolled: 1-line block ×29, first 2 shown]
	v_mad_u32_u24 v82, 0x88, v158, 0
	ds_store_2addr_b64 v82, v[92:93], v[106:107] offset0:4 offset1:5
	ds_store_2addr_b64 v82, v[98:99], v[100:101] offset0:6 offset1:7
	;; [unrolled: 1-line block ×7, first 2 shown]
	ds_store_2addr_b64 v82, v[80:81], v[8:9] offset1:1
	ds_store_b64 v82, v[4:5] offset:128
.LBB0_13:
	s_wait_alu 0xfffe
	s_or_b32 exec_lo, exec_lo, s1
	v_add_f64_e64 v[154:155], v[46:47], -v[10:11]
	v_add_f64_e64 v[150:151], v[70:71], -v[14:15]
	v_add_f64_e32 v[144:145], v[48:49], v[12:13]
	v_add_f64_e64 v[136:137], v[54:55], -v[18:19]
	v_add_f64_e32 v[134:135], v[16:17], v[72:73]
	v_add_f64_e32 v[124:125], v[56:57], v[20:21]
	v_add_f64_e64 v[132:133], v[58:59], -v[26:27]
	v_add_f64_e32 v[114:115], v[60:61], v[28:29]
	v_add_f64_e64 v[122:123], v[66:67], -v[30:31]
	;; [unrolled: 2-line block ×4, first 2 shown]
	v_add_f64_e64 v[50:51], v[50:51], -v[38:39]
	v_lshl_add_u32 v156, v158, 3, 0
	global_wb scope:SCOPE_SE
	s_wait_dscnt 0x0
	s_barrier_signal -1
	s_barrier_wait -1
	global_inv scope:SCOPE_SE
	v_add_nc_u32_e32 v162, 0x800, v156
	v_add_nc_u32_e32 v161, 0x1000, v156
	;; [unrolled: 1-line block ×5, first 2 shown]
	s_add_nc_u64 s[2:3], s[14:15], s[2:3]
	v_mul_f64_e32 v[148:149], s[30:31], v[154:155]
	v_mul_f64_e32 v[146:147], s[28:29], v[154:155]
	;; [unrolled: 1-line block ×20, first 2 shown]
	v_fma_f64 v[4:5], v[144:145], s[6:7], v[148:149]
	v_fma_f64 v[8:9], v[144:145], s[12:13], v[146:147]
	;; [unrolled: 1-line block ×12, first 2 shown]
	v_add_f64_e32 v[4:5], v[4:5], v[24:25]
	v_add_f64_e32 v[8:9], v[8:9], v[24:25]
	;; [unrolled: 1-line block ×3, first 2 shown]
	s_delay_alu instid0(VALU_DEP_3) | instskip(NEXT) | instid1(VALU_DEP_3)
	v_add_f64_e32 v[4:5], v[4:5], v[14:15]
	v_add_f64_e32 v[8:9], v[8:9], v[18:19]
	s_delay_alu instid0(VALU_DEP_3)
	v_add_f64_e32 v[10:11], v[10:11], v[22:23]
	v_fma_f64 v[14:15], v[114:115], s[34:35], v[116:117]
	v_fma_f64 v[18:19], v[114:115], s[24:25], v[118:119]
	v_fma_f64 v[22:23], v[114:115], s[8:9], v[120:121]
	v_add_f64_e32 v[4:5], v[26:27], v[4:5]
	v_add_f64_e32 v[8:9], v[30:31], v[8:9]
	;; [unrolled: 1-line block ×3, first 2 shown]
	v_fma_f64 v[26:27], v[106:107], s[18:19], v[74:75]
	v_fma_f64 v[30:31], v[106:107], s[6:7], v[108:109]
	v_mul_f64_e32 v[46:47], s[48:49], v[70:71]
	v_add_f64_e32 v[4:5], v[14:15], v[4:5]
	v_add_f64_e32 v[8:9], v[18:19], v[8:9]
	;; [unrolled: 1-line block ×4, first 2 shown]
	v_fma_f64 v[14:15], v[54:55], s[24:25], v[58:59]
	v_add_f64_e32 v[18:19], v[40:41], v[52:53]
	v_add_f64_e32 v[4:5], v[26:27], v[4:5]
	;; [unrolled: 1-line block ×4, first 2 shown]
	v_mul_f64_e32 v[26:27], s[36:37], v[50:51]
	v_mul_f64_e32 v[30:31], s[42:43], v[50:51]
	;; [unrolled: 1-line block ×3, first 2 shown]
	v_fma_f64 v[82:83], v[22:23], s[12:13], v[38:39]
	v_fma_f64 v[84:85], v[22:23], s[20:21], v[42:43]
	;; [unrolled: 1-line block ×3, first 2 shown]
	v_add_f64_e32 v[4:5], v[14:15], v[4:5]
	v_add_f64_e32 v[8:9], v[78:79], v[8:9]
	;; [unrolled: 1-line block ×3, first 2 shown]
	v_fma_f64 v[14:15], v[18:19], s[8:9], v[26:27]
	v_fma_f64 v[78:79], v[18:19], s[18:19], v[30:31]
	;; [unrolled: 1-line block ×3, first 2 shown]
	v_add_f64_e32 v[4:5], v[82:83], v[4:5]
	v_add_f64_e32 v[8:9], v[84:85], v[8:9]
	;; [unrolled: 1-line block ×3, first 2 shown]
	s_delay_alu instid0(VALU_DEP_3) | instskip(NEXT) | instid1(VALU_DEP_3)
	v_add_f64_e32 v[10:11], v[14:15], v[4:5]
	v_add_f64_e32 v[8:9], v[78:79], v[8:9]
	s_delay_alu instid0(VALU_DEP_3)
	v_add_f64_e32 v[14:15], v[80:81], v[82:83]
	ds_load_2addr_b64 v[78:81], v156 offset1:136
	ds_load_2addr_b64 v[98:101], v162 offset0:16 offset1:152
	ds_load_2addr_b64 v[94:97], v161 offset0:32 offset1:168
	;; [unrolled: 1-line block ×5, first 2 shown]
	ds_load_b64 v[4:5], v156 offset:13056
	global_wb scope:SCOPE_SE
	s_wait_dscnt 0x0
	s_barrier_signal -1
	s_barrier_wait -1
	global_inv scope:SCOPE_SE
	s_and_saveexec_b32 s33, s0
	s_cbranch_execz .LBB0_15
; %bb.14:
	v_add_f64_e32 v[48:49], v[48:49], v[24:25]
	s_mov_b32 s0, 0x923c349f
	s_mov_b32 s1, 0xbfeec746
	;; [unrolled: 1-line block ×7, first 2 shown]
	s_wait_alu 0xfffe
	v_mul_f64_e32 v[173:174], s[0:1], v[154:155]
	s_mov_b32 s43, 0xbfc7851a
	v_mul_f64_e32 v[175:176], s[30:31], v[154:155]
	v_mul_f64_e32 v[177:178], s[48:49], v[154:155]
	s_wait_alu 0xfffe
	v_mul_f64_e32 v[179:180], s[42:43], v[154:155]
	s_mov_b32 s40, 0x5d8e7cdc
	s_mov_b32 s41, 0xbfd71e95
	;; [unrolled: 1-line block ×3, first 2 shown]
	s_wait_alu 0xfffe
	v_mul_f64_e32 v[154:155], s[40:41], v[154:155]
	s_mov_b32 s46, 0x7c9e640b
	s_mov_b32 s15, 0xbfd183b1
	;; [unrolled: 1-line block ×16, first 2 shown]
	v_mul_f64_e32 v[163:164], s[34:35], v[134:135]
	s_mov_b32 s29, 0xbfef7484
	s_wait_alu 0xfffe
	v_mul_f64_e32 v[181:182], s[46:47], v[150:151]
	v_mul_f64_e32 v[183:184], s[44:45], v[150:151]
	;; [unrolled: 1-line block ×3, first 2 shown]
	v_add_f64_e32 v[48:49], v[72:73], v[48:49]
	v_mul_f64_e32 v[72:73], s[20:21], v[134:135]
	v_mul_f64_e32 v[167:168], s[34:35], v[124:125]
	;; [unrolled: 1-line block ×3, first 2 shown]
	s_mov_b32 s34, 0x370991
	s_mov_b32 s35, 0x3fedd6d0
	s_mov_b32 s44, 0x2b2883cd
	s_mov_b32 s38, 0x75d4884
	s_mov_b32 s45, 0x3fdc86fa
	s_mov_b32 s59, 0xbfeca52d
	s_mov_b32 s57, 0x3fe58eea
	v_fma_f64 v[187:188], v[144:145], s[36:37], -v[177:178]
	v_fma_f64 v[189:190], v[144:145], s[28:29], -v[179:180]
	v_fma_f64 v[179:180], v[144:145], s[28:29], v[179:180]
	v_fma_f64 v[177:178], v[144:145], s[36:37], v[177:178]
	s_mov_b32 s51, 0xbfefdd0d
	s_wait_alu 0xfffe
	v_fma_f64 v[191:192], v[144:145], s[34:35], -v[154:155]
	s_mov_b32 s50, 0xeb564b22
	s_mov_b32 s58, s46
	;; [unrolled: 1-line block ×4, first 2 shown]
	v_mul_f64_e32 v[165:166], s[22:23], v[124:125]
	v_mul_f64_e32 v[169:170], s[24:25], v[124:125]
	s_wait_alu 0xfffe
	v_mul_f64_e32 v[193:194], s[58:59], v[136:137]
	s_mov_b32 s61, 0x3fe9895b
	s_mov_b32 s60, s30
	v_mul_f64_e32 v[201:202], s[58:59], v[132:133]
	v_mul_f64_e32 v[199:200], s[48:49], v[132:133]
	s_wait_alu 0xfffe
	v_mul_f64_e32 v[203:204], s[60:61], v[132:133]
	v_fma_f64 v[195:196], v[134:135], s[14:15], -v[185:186]
	v_add_f64_e32 v[48:49], v[56:57], v[48:49]
	v_mul_f64_e32 v[56:57], s[6:7], v[144:145]
	v_add_f64_e64 v[72:73], v[72:73], -v[138:139]
	v_add_f64_e64 v[138:139], v[163:164], -v[142:143]
	v_fma_f64 v[142:143], v[134:135], s[44:45], -v[181:182]
	v_fma_f64 v[163:164], v[134:135], s[44:45], v[181:182]
	v_fma_f64 v[181:182], v[134:135], s[36:37], -v[183:184]
	v_fma_f64 v[183:184], v[134:135], s[36:37], v[183:184]
	v_fma_f64 v[185:186], v[134:135], s[14:15], v[185:186]
	v_add_f64_e64 v[128:129], v[167:168], -v[128:129]
	v_add_f64_e64 v[116:117], v[171:172], -v[116:117]
	v_add_f64_e32 v[179:180], v[179:180], v[24:25]
	v_add_f64_e32 v[177:178], v[177:178], v[24:25]
	v_add_f64_e64 v[126:127], v[165:166], -v[126:127]
	v_add_f64_e64 v[130:131], v[169:170], -v[130:131]
	v_fma_f64 v[205:206], v[124:125], s[44:45], -v[193:194]
	v_fma_f64 v[193:194], v[124:125], s[44:45], v[193:194]
	v_fma_f64 v[171:172], v[114:115], s[36:37], -v[199:200]
	v_add_f64_e32 v[48:49], v[60:61], v[48:49]
	v_mul_f64_e32 v[60:61], s[12:13], v[144:145]
	v_add_f64_e64 v[56:57], v[56:57], -v[148:149]
	v_fma_f64 v[148:149], v[144:145], s[14:15], -v[173:174]
	v_fma_f64 v[173:174], v[144:145], s[14:15], v[173:174]
	v_add_f64_e32 v[48:49], v[68:69], v[48:49]
	v_mul_f64_e32 v[68:69], s[20:21], v[144:145]
	v_add_f64_e32 v[56:57], v[56:57], v[24:25]
	v_add_f64_e32 v[148:149], v[148:149], v[24:25]
	;; [unrolled: 1-line block ×4, first 2 shown]
	v_add_f64_e64 v[68:69], v[68:69], -v[152:153]
	v_mul_f64_e32 v[76:77], s[22:23], v[134:135]
	v_fma_f64 v[152:153], v[144:145], s[26:27], -v[175:176]
	v_fma_f64 v[175:176], v[144:145], s[26:27], v[175:176]
	v_add_f64_e32 v[56:57], v[56:57], v[72:73]
	v_add_f64_e32 v[72:73], v[148:149], v[181:182]
	v_fma_f64 v[181:182], v[114:115], s[44:45], -v[201:202]
	v_add_f64_e32 v[48:49], v[64:65], v[48:49]
	v_mul_f64_e32 v[64:65], s[54:55], v[150:151]
	v_mul_f64_e32 v[150:151], s[52:53], v[150:151]
	v_add_f64_e32 v[68:69], v[68:69], v[24:25]
	v_add_f64_e64 v[76:77], v[76:77], -v[140:141]
	s_mov_b32 s52, 0x3259b75e
	s_mov_b32 s53, 0x3fb79ee6
	v_add_f64_e32 v[56:57], v[126:127], v[56:57]
	v_add_f64_e32 v[48:49], v[52:53], v[48:49]
	v_add_f64_e64 v[52:53], v[60:61], -v[146:147]
	v_fma_f64 v[60:61], v[144:145], s[34:35], v[154:155]
	v_mul_f64_e32 v[144:145], s[40:41], v[136:137]
	v_mul_f64_e32 v[146:147], s[50:51], v[136:137]
	;; [unrolled: 1-line block ×4, first 2 shown]
	v_fma_f64 v[140:141], v[134:135], s[38:39], -v[64:65]
	v_fma_f64 v[64:65], v[134:135], s[38:39], v[64:65]
	v_fma_f64 v[197:198], v[134:135], s[34:35], -v[150:151]
	v_fma_f64 v[134:135], v[134:135], s[34:35], v[150:151]
	v_add_f64_e32 v[150:151], v[152:153], v[24:25]
	v_add_f64_e32 v[152:153], v[175:176], v[24:25]
	;; [unrolled: 1-line block ×6, first 2 shown]
	v_mul_f64_e32 v[191:192], s[50:51], v[132:133]
	v_mul_f64_e32 v[132:133], s[56:57], v[132:133]
	s_mov_b32 s51, 0x3fefdd0d
	v_add_f64_e32 v[56:57], v[116:117], v[56:57]
	v_add_f64_e32 v[40:41], v[40:41], v[48:49]
	;; [unrolled: 1-line block ×4, first 2 shown]
	v_mul_f64_e32 v[60:61], s[8:9], v[114:115]
	v_mul_f64_e32 v[52:53], s[24:25], v[114:115]
	v_fma_f64 v[165:166], v[124:125], s[34:35], -v[144:145]
	v_fma_f64 v[207:208], v[124:125], s[38:39], -v[136:137]
	v_fma_f64 v[144:145], v[124:125], s[34:35], v[144:145]
	s_wait_alu 0xfffe
	v_fma_f64 v[167:168], v[124:125], s[52:53], -v[146:147]
	v_fma_f64 v[146:147], v[124:125], s[52:53], v[146:147]
	v_fma_f64 v[169:170], v[124:125], s[36:37], -v[154:155]
	v_fma_f64 v[154:155], v[124:125], s[36:37], v[154:155]
	v_fma_f64 v[124:125], v[124:125], s[38:39], v[136:137]
	v_add_f64_e32 v[136:137], v[150:151], v[195:196]
	v_add_f64_e32 v[142:143], v[175:176], v[142:143]
	;; [unrolled: 1-line block ×8, first 2 shown]
	v_mul_f64_e32 v[173:174], s[42:43], v[122:123]
	v_add_f64_e32 v[68:69], v[130:131], v[68:69]
	v_mul_f64_e32 v[163:164], s[0:1], v[122:123]
	v_mul_f64_e32 v[175:176], s[40:41], v[122:123]
	;; [unrolled: 1-line block ×4, first 2 shown]
	v_fma_f64 v[179:180], v[114:115], s[36:37], v[199:200]
	v_fma_f64 v[183:184], v[114:115], s[44:45], v[201:202]
	v_fma_f64 v[185:186], v[114:115], s[26:27], -v[203:204]
	v_fma_f64 v[187:188], v[114:115], s[26:27], v[203:204]
	v_fma_f64 v[189:190], v[114:115], s[38:39], -v[132:133]
	v_add_f64_e32 v[40:41], v[44:45], v[40:41]
	v_add_f64_e32 v[44:45], v[48:49], v[76:77]
	;; [unrolled: 1-line block ×3, first 2 shown]
	v_mul_f64_e32 v[48:49], s[18:19], v[106:107]
	v_mul_f64_e32 v[76:77], s[12:13], v[106:107]
	v_add_f64_e64 v[60:61], v[60:61], -v[120:121]
	v_add_f64_e32 v[72:73], v[207:208], v[72:73]
	v_mul_f64_e32 v[64:65], s[6:7], v[106:107]
	v_add_f64_e64 v[52:53], v[52:53], -v[118:119]
	v_fma_f64 v[118:119], v[114:115], s[52:53], -v[191:192]
	v_fma_f64 v[120:121], v[114:115], s[52:53], v[191:192]
	v_fma_f64 v[114:115], v[114:115], s[38:39], v[132:133]
	v_add_f64_e32 v[126:127], v[165:166], v[136:137]
	v_add_f64_e32 v[132:133], v[167:168], v[142:143]
	;; [unrolled: 1-line block ×8, first 2 shown]
	v_mul_f64_e32 v[142:143], s[18:19], v[54:55]
	v_mul_f64_e32 v[144:145], s[30:31], v[112:113]
	;; [unrolled: 1-line block ×6, first 2 shown]
	v_fma_f64 v[152:153], v[106:107], s[28:29], v[173:174]
	v_fma_f64 v[154:155], v[106:107], s[34:35], -v[175:176]
	v_fma_f64 v[165:166], v[106:107], s[26:27], -v[177:178]
	v_fma_f64 v[167:168], v[106:107], s[26:27], v[177:178]
	v_fma_f64 v[169:170], v[106:107], s[52:53], -v[122:123]
	v_add_f64_e32 v[36:37], v[36:37], v[40:41]
	v_add_f64_e32 v[40:41], v[128:129], v[44:45]
	v_add_f64_e32 v[24:25], v[193:194], v[24:25]
	v_mul_f64_e32 v[44:45], s[24:25], v[54:55]
	v_mul_f64_e32 v[128:129], s[8:9], v[54:55]
	v_add_f64_e64 v[48:49], v[48:49], -v[74:75]
	v_add_f64_e64 v[74:75], v[76:77], -v[110:111]
	v_fma_f64 v[110:111], v[106:107], s[28:29], -v[173:174]
	v_add_f64_e32 v[60:61], v[60:61], v[68:69]
	v_add_f64_e32 v[68:69], v[181:182], v[72:73]
	v_add_f64_e64 v[64:65], v[64:65], -v[108:109]
	v_fma_f64 v[76:77], v[106:107], s[14:15], -v[163:164]
	v_fma_f64 v[108:109], v[106:107], s[14:15], v[163:164]
	v_fma_f64 v[163:164], v[106:107], s[34:35], v[175:176]
	v_fma_f64 v[106:107], v[106:107], s[52:53], v[122:123]
	v_add_f64_e32 v[72:73], v[171:172], v[126:127]
	v_add_f64_e32 v[122:123], v[185:186], v[132:133]
	;; [unrolled: 1-line block ×8, first 2 shown]
	v_mul_f64_e32 v[134:135], s[40:41], v[70:71]
	v_mul_f64_e32 v[132:133], s[48:49], v[70:71]
	;; [unrolled: 1-line block ×3, first 2 shown]
	v_fma_f64 v[171:172], v[54:55], s[52:53], -v[112:113]
	v_mul_f64_e32 v[138:139], s[0:1], v[70:71]
	v_mul_f64_e32 v[70:71], s[56:57], v[70:71]
	v_fma_f64 v[140:141], v[54:55], s[38:39], -v[146:147]
	v_add_f64_e32 v[32:33], v[32:33], v[36:37]
	v_add_f64_e32 v[36:37], v[52:53], v[40:41]
	;; [unrolled: 1-line block ×3, first 2 shown]
	v_mul_f64_e32 v[40:41], s[12:13], v[22:23]
	v_mul_f64_e32 v[52:53], s[20:21], v[22:23]
	;; [unrolled: 1-line block ×3, first 2 shown]
	v_add_f64_e64 v[44:45], v[44:45], -v[58:59]
	v_add_f64_e64 v[58:59], v[128:129], -v[62:63]
	;; [unrolled: 1-line block ×3, first 2 shown]
	v_add_f64_e32 v[48:49], v[48:49], v[56:57]
	v_add_f64_e32 v[56:57], v[74:75], v[60:61]
	;; [unrolled: 1-line block ×3, first 2 shown]
	v_fma_f64 v[66:67], v[54:55], s[26:27], -v[144:145]
	v_fma_f64 v[128:129], v[54:55], s[26:27], v[144:145]
	v_fma_f64 v[144:145], v[54:55], s[28:29], -v[148:149]
	v_add_f64_e32 v[68:69], v[169:170], v[72:73]
	v_add_f64_e32 v[74:75], v[154:155], v[122:123]
	v_fma_f64 v[142:143], v[54:55], s[38:39], v[146:147]
	v_fma_f64 v[146:147], v[54:55], s[28:29], v[148:149]
	v_fma_f64 v[148:149], v[54:55], s[44:45], -v[150:151]
	v_fma_f64 v[150:151], v[54:55], s[44:45], v[150:151]
	v_add_f64_e32 v[72:73], v[106:107], v[116:117]
	v_add_f64_e32 v[106:107], v[165:166], v[126:127]
	v_add_f64_e32 v[110:111], v[167:168], v[114:115]
	v_fma_f64 v[54:55], v[54:55], s[52:53], v[112:113]
	v_add_f64_e32 v[112:113], v[163:164], v[130:131]
	v_add_f64_e32 v[114:115], v[152:153], v[124:125]
	;; [unrolled: 1-line block ×3, first 2 shown]
	v_mul_f64_e32 v[118:119], s[30:31], v[50:51]
	v_mul_f64_e32 v[122:123], s[46:47], v[50:51]
	;; [unrolled: 1-line block ×3, first 2 shown]
	v_fma_f64 v[126:127], v[22:23], s[34:35], v[134:135]
	v_fma_f64 v[130:131], v[22:23], s[28:29], -v[136:137]
	v_mul_f64_e32 v[116:117], s[42:43], v[50:51]
	v_mul_f64_e32 v[50:51], s[50:51], v[50:51]
	v_add_f64_e32 v[28:29], v[28:29], v[32:33]
	v_add_f64_e32 v[32:33], v[64:65], v[36:37]
	;; [unrolled: 1-line block ×3, first 2 shown]
	v_mul_f64_e32 v[108:109], s[6:7], v[18:19]
	v_add_f64_e64 v[38:39], v[40:41], -v[38:39]
	v_add_f64_e64 v[40:41], v[52:53], -v[42:43]
	;; [unrolled: 1-line block ×3, first 2 shown]
	v_fma_f64 v[120:121], v[22:23], s[34:35], -v[134:135]
	v_mul_f64_e32 v[36:37], s[8:9], v[18:19]
	v_add_f64_e32 v[44:45], v[44:45], v[48:49]
	v_add_f64_e32 v[48:49], v[62:63], v[56:57]
	;; [unrolled: 1-line block ×3, first 2 shown]
	v_fma_f64 v[46:47], v[22:23], s[36:37], -v[132:133]
	v_fma_f64 v[52:53], v[22:23], s[36:37], v[132:133]
	v_fma_f64 v[132:133], v[22:23], s[28:29], v[136:137]
	v_fma_f64 v[134:135], v[22:23], s[14:15], -v[138:139]
	v_fma_f64 v[136:137], v[22:23], s[14:15], v[138:139]
	v_fma_f64 v[138:139], v[22:23], s[38:39], -v[70:71]
	v_add_f64_e32 v[60:61], v[140:141], v[68:69]
	v_add_f64_e32 v[68:69], v[144:145], v[74:75]
	v_mul_f64_e32 v[64:65], s[18:19], v[18:19]
	v_fma_f64 v[22:23], v[22:23], s[38:39], v[70:71]
	v_add_f64_e32 v[62:63], v[142:143], v[72:73]
	v_add_f64_e32 v[70:71], v[148:149], v[106:107]
	;; [unrolled: 1-line block ×6, first 2 shown]
	v_fma_f64 v[76:77], v[18:19], s[44:45], -v[122:123]
	v_fma_f64 v[106:107], v[18:19], s[44:45], v[122:123]
	v_fma_f64 v[110:111], v[18:19], s[14:15], v[124:125]
	v_fma_f64 v[112:113], v[18:19], s[52:53], -v[50:51]
	v_add_f64_e32 v[20:21], v[20:21], v[28:29]
	v_add_f64_e32 v[28:29], v[58:59], v[32:33]
	;; [unrolled: 1-line block ×3, first 2 shown]
	v_add_f64_e64 v[32:33], v[108:109], -v[34:35]
	v_fma_f64 v[58:59], v[18:19], s[26:27], -v[118:119]
	v_fma_f64 v[108:109], v[18:19], s[14:15], -v[124:125]
	;; [unrolled: 1-line block ×3, first 2 shown]
	v_add_f64_e64 v[26:27], v[36:37], -v[26:27]
	v_add_f64_e32 v[38:39], v[38:39], v[44:45]
	v_add_f64_e32 v[42:43], v[42:43], v[48:49]
	;; [unrolled: 1-line block ×3, first 2 shown]
	v_fma_f64 v[36:37], v[18:19], s[28:29], v[116:117]
	v_add_f64_e32 v[48:49], v[130:131], v[60:61]
	v_add_f64_e32 v[56:57], v[138:139], v[68:69]
	v_add_f64_e64 v[30:31], v[64:65], -v[30:31]
	v_fma_f64 v[64:65], v[18:19], s[26:27], v[118:119]
	v_fma_f64 v[18:19], v[18:19], s[52:53], v[50:51]
	v_add_f64_e32 v[50:51], v[132:133], v[62:63]
	v_add_f64_e32 v[60:61], v[134:135], v[70:71]
	;; [unrolled: 1-line block ×23, first 2 shown]
	v_lshl_add_u32 v24, v158, 7, v156
	ds_store_2addr_b64 v24, v[28:29], v[32:33] offset0:4 offset1:5
	ds_store_2addr_b64 v24, v[38:39], v[42:43] offset0:6 offset1:7
	;; [unrolled: 1-line block ×6, first 2 shown]
	ds_store_2addr_b64 v24, v[12:13], v[34:35] offset1:1
	ds_store_2addr_b64 v24, v[26:27], v[16:17] offset0:2 offset1:3
	ds_store_b64 v24, v[20:21] offset:128
.LBB0_15:
	s_or_b32 exec_lo, exec_lo, s33
	v_and_b32_e32 v12, 0xff, v158
	s_load_b64 s[2:3], s[2:3], 0x0
	global_wb scope:SCOPE_SE
	s_wait_dscnt 0x0
	s_wait_kmcnt 0x0
	s_barrier_signal -1
	s_barrier_wait -1
	v_mul_lo_u16 v12, 0xf1, v12
	global_inv scope:SCOPE_SE
	s_mov_b32 s6, 0x4267c47c
	s_mov_b32 s8, 0x42a4c3d2
	;; [unrolled: 1-line block ×3, first 2 shown]
	v_lshrrev_b16 v28, 12, v12
	s_mov_b32 s7, 0xbfddbe06
	s_mov_b32 s9, 0xbfea55e2
	;; [unrolled: 1-line block ×4, first 2 shown]
	v_mul_lo_u16 v12, v28, 17
	s_mov_b32 s22, 0x24c2f84
	s_mov_b32 s21, 0xbfedeba7
	;; [unrolled: 1-line block ×4, first 2 shown]
	v_sub_nc_u16 v12, v158, v12
	s_mov_b32 s25, 0xbfcea1e5
	s_mov_b32 s14, 0xe00740e9
	;; [unrolled: 1-line block ×4, first 2 shown]
	v_and_b32_e32 v29, 0xff, v12
	s_mov_b32 s15, 0x3fec55a7
	s_mov_b32 s19, 0x3fe22d96
	;; [unrolled: 1-line block ×4, first 2 shown]
	v_mul_u32_u24_e32 v12, 12, v29
	s_mov_b32 s34, 0xd0032e0c
	s_mov_b32 s29, 0x3fe5384d
	s_mov_b32 s37, 0x3fefc445
	s_mov_b32 s39, 0x3fddbe06
	v_lshlrev_b32_e32 v12, 4, v12
	s_wait_alu 0xfffe
	s_mov_b32 s28, s22
	s_mov_b32 s36, s12
	s_mov_b32 s38, s6
	s_mov_b32 s31, 0xbfd6b1d8
	s_clause 0xb
	global_load_b128 v[16:19], v12, s[4:5]
	global_load_b128 v[20:23], v12, s[4:5] offset:16
	global_load_b128 v[30:33], v12, s[4:5] offset:32
	;; [unrolled: 1-line block ×11, first 2 shown]
	ds_load_2addr_b64 v[24:27], v156 offset1:136
	ds_load_2addr_b64 v[62:65], v162 offset0:16 offset1:152
	ds_load_2addr_b64 v[126:129], v161 offset0:32 offset1:168
	s_mov_b32 s35, 0xbfe7f3cc
	s_mov_b32 s40, 0x93053d00
	;; [unrolled: 1-line block ×9, first 2 shown]
	v_and_b32_e32 v28, 0xffff, v28
	v_lshlrev_b32_e32 v29, 3, v29
	v_cmp_gt_u32_e64 s0, 0x55, v158
	s_delay_alu instid0(VALU_DEP_3)
	v_mul_u32_u24_e32 v28, 0x6e8, v28
	s_wait_loadcnt_dscnt 0xb02
	v_mul_f64_e32 v[12:13], v[26:27], v[18:19]
	s_wait_loadcnt_dscnt 0xa01
	v_mul_f64_e32 v[38:39], v[62:63], v[22:23]
	v_mul_f64_e32 v[18:19], v[80:81], v[18:19]
	s_wait_loadcnt 0x8
	v_mul_f64_e32 v[40:41], v[4:5], v[36:37]
	s_wait_loadcnt_dscnt 0x700
	v_mul_f64_e32 v[54:55], v[126:127], v[44:45]
	v_mul_f64_e32 v[22:23], v[98:99], v[22:23]
	s_wait_loadcnt 0x6
	v_mul_f64_e32 v[60:61], v[92:93], v[48:49]
	s_wait_loadcnt 0x4
	v_mul_f64_e32 v[68:69], v[90:91], v[108:109]
	v_mul_f64_e32 v[44:45], v[94:95], v[44:45]
	v_fma_f64 v[58:59], v[80:81], v[16:17], v[12:13]
	v_mul_f64_e32 v[12:13], v[64:65], v[32:33]
	v_fma_f64 v[52:53], v[98:99], v[20:21], v[38:39]
	v_fma_f64 v[70:71], v[26:27], v[16:17], -v[18:19]
	ds_load_2addr_b64 v[16:19], v160 offset0:80 offset1:216
	v_mul_f64_e32 v[26:27], v[128:129], v[76:77]
	v_fma_f64 v[62:63], v[62:63], v[20:21], -v[22:23]
	v_fma_f64 v[72:73], v[126:127], v[42:43], -v[44:45]
	s_wait_dscnt 0x0
	v_mul_f64_e32 v[48:49], v[18:19], v[48:49]
	v_mul_f64_e32 v[80:81], v[16:17], v[108:109]
	v_add_f64_e32 v[38:39], v[78:79], v[58:59]
	v_fma_f64 v[56:57], v[100:101], v[30:31], v[12:13]
	s_delay_alu instid0(VALU_DEP_3) | instskip(NEXT) | instid1(VALU_DEP_3)
	v_fma_f64 v[80:81], v[90:91], v[106:107], v[80:81]
	v_add_f64_e32 v[12:13], v[38:39], v[52:53]
	ds_load_b64 v[38:39], v156 offset:13056
	s_wait_dscnt 0x0
	v_mul_f64_e32 v[36:37], v[38:39], v[36:37]
	v_fma_f64 v[50:51], v[38:39], v[34:35], -v[40:41]
	v_fma_f64 v[38:39], v[94:95], v[42:43], v[54:55]
	v_mul_f64_e32 v[54:55], v[100:101], v[32:33]
	v_fma_f64 v[32:33], v[96:97], v[74:75], v[26:27]
	s_wait_loadcnt 0x2
	v_mul_f64_e32 v[94:95], v[84:85], v[116:117]
	v_add_f64_e32 v[40:41], v[12:13], v[56:57]
	v_fma_f64 v[12:13], v[18:19], v[46:47], -v[60:61]
	ds_load_2addr_b64 v[18:21], v159 offset0:48 offset1:184
	v_fma_f64 v[66:67], v[4:5], v[34:35], v[36:37]
	v_add_f64_e64 v[4:5], v[70:71], -v[50:51]
	s_wait_dscnt 0x0
	v_mul_f64_e32 v[22:23], v[18:19], v[112:113]
	v_fma_f64 v[60:61], v[64:65], v[30:31], -v[54:55]
	v_fma_f64 v[30:31], v[16:17], v[106:107], -v[68:69]
	v_fma_f64 v[68:69], v[92:93], v[46:47], v[48:49]
	s_wait_loadcnt 0x1
	v_mul_f64_e32 v[46:47], v[20:21], v[120:121]
	ds_load_2addr_b64 v[34:37], v157 offset0:64 offset1:200
	v_mul_f64_e32 v[112:113], v[86:87], v[112:113]
	global_wb scope:SCOPE_SE
	s_wait_loadcnt_dscnt 0x0
	s_barrier_signal -1
	s_barrier_wait -1
	global_inv scope:SCOPE_SE
	v_add_f64_e32 v[26:27], v[40:41], v[38:39]
	v_add_f64_e64 v[16:17], v[62:63], -v[12:13]
	v_mul_f64_e32 v[116:117], v[36:37], v[116:117]
	v_fma_f64 v[54:55], v[36:37], v[114:115], -v[94:95]
	v_add_f64_e32 v[48:49], v[58:59], v[66:67]
	v_mul_f64_e32 v[92:93], s[6:7], v[4:5]
	v_mul_f64_e32 v[98:99], s[8:9], v[4:5]
	;; [unrolled: 1-line block ×6, first 2 shown]
	v_fma_f64 v[40:41], v[86:87], v[110:111], v[22:23]
	v_add_f64_e64 v[36:37], v[60:61], -v[30:31]
	v_add_f64_e32 v[42:43], v[52:53], v[68:69]
	v_fma_f64 v[64:65], v[88:89], v[118:119], v[46:47]
	v_mul_f64_e32 v[88:89], v[88:89], v[120:121]
	v_add_f64_e32 v[22:23], v[26:27], v[32:33]
	v_mul_f64_e32 v[26:27], v[96:97], v[76:77]
	v_mul_f64_e32 v[76:77], v[34:35], v[124:125]
	v_mul_f64_e32 v[96:97], v[82:83], v[124:125]
	v_mul_f64_e32 v[44:45], s[8:9], v[16:17]
	v_mul_f64_e32 v[90:91], s[20:21], v[16:17]
	v_mul_f64_e32 v[94:95], s[24:25], v[16:17]
	s_wait_alu 0xfffe
	v_mul_f64_e32 v[106:107], s[28:29], v[16:17]
	v_mul_f64_e32 v[124:125], s[36:37], v[16:17]
	;; [unrolled: 1-line block ×3, first 2 shown]
	v_fma_f64 v[84:85], v[84:85], v[114:115], v[116:117]
	v_fma_f64 v[46:47], v[48:49], s[14:15], v[92:93]
	;; [unrolled: 1-line block ×3, first 2 shown]
	v_fma_f64 v[98:99], v[48:49], s[18:19], -v[98:99]
	v_fma_f64 v[132:133], v[48:49], s[26:27], v[100:101]
	v_fma_f64 v[134:135], v[48:49], s[30:31], v[108:109]
	v_fma_f64 v[108:109], v[48:49], s[30:31], -v[108:109]
	v_fma_f64 v[136:137], v[48:49], s[34:35], v[130:131]
	v_fma_f64 v[138:139], v[48:49], s[40:41], v[4:5]
	v_fma_f64 v[4:5], v[48:49], s[40:41], -v[4:5]
	v_fma_f64 v[130:131], v[48:49], s[34:35], -v[130:131]
	;; [unrolled: 1-line block ×4, first 2 shown]
	v_mul_f64_e32 v[92:93], s[12:13], v[36:37]
	v_mul_f64_e32 v[114:115], s[42:43], v[36:37]
	;; [unrolled: 1-line block ×4, first 2 shown]
	v_add_f64_e32 v[22:23], v[22:23], v[40:41]
	v_fma_f64 v[86:87], v[128:129], v[74:75], -v[26:27]
	v_fma_f64 v[74:75], v[82:83], v[122:123], v[76:77]
	v_fma_f64 v[76:77], v[34:35], v[122:123], -v[96:97]
	v_add_f64_e32 v[26:27], v[56:57], v[80:81]
	v_add_f64_e64 v[34:35], v[72:73], -v[54:55]
	v_mul_f64_e32 v[96:97], s[24:25], v[36:37]
	v_mul_f64_e32 v[36:37], s[22:23], v[36:37]
	v_fma_f64 v[122:123], v[42:43], s[18:19], v[44:45]
	v_fma_f64 v[44:45], v[42:43], s[18:19], -v[44:45]
	v_fma_f64 v[128:129], v[42:43], s[30:31], v[90:91]
	v_fma_f64 v[90:91], v[42:43], s[30:31], -v[90:91]
	;; [unrolled: 2-line block ×6, first 2 shown]
	v_fma_f64 v[82:83], v[20:21], v[118:119], -v[88:89]
	v_add_f64_e32 v[42:43], v[78:79], v[46:47]
	v_add_f64_e32 v[46:47], v[78:79], v[126:127]
	;; [unrolled: 1-line block ×12, first 2 shown]
	v_fma_f64 v[78:79], v[18:19], v[110:111], -v[112:113]
	v_add_f64_e32 v[18:19], v[38:39], v[84:85]
	v_add_f64_e32 v[22:23], v[22:23], v[64:65]
	v_add_f64_e64 v[20:21], v[86:87], -v[76:77]
	v_fma_f64 v[148:149], v[26:27], s[26:27], v[92:93]
	v_mul_f64_e32 v[88:89], s[20:21], v[34:35]
	v_mul_f64_e32 v[110:111], s[28:29], v[34:35]
	;; [unrolled: 1-line block ×6, first 2 shown]
	v_fma_f64 v[92:93], v[26:27], s[26:27], -v[92:93]
	v_fma_f64 v[150:151], v[26:27], s[40:41], v[96:97]
	v_fma_f64 v[96:97], v[26:27], s[40:41], -v[96:97]
	v_fma_f64 v[152:153], v[26:27], s[30:31], v[114:115]
	;; [unrolled: 2-line block ×5, first 2 shown]
	v_fma_f64 v[26:27], v[26:27], s[34:35], -v[36:37]
	v_add_f64_e32 v[36:37], v[122:123], v[42:43]
	v_add_f64_e32 v[42:43], v[128:129], v[46:47]
	;; [unrolled: 1-line block ×13, first 2 shown]
	v_add_f64_e64 v[100:101], v[78:79], -v[82:83]
	v_add_f64_e32 v[22:23], v[22:23], v[74:75]
	v_mul_f64_e32 v[126:127], s[36:37], v[20:21]
	v_mul_f64_e32 v[128:129], s[8:9], v[20:21]
	v_fma_f64 v[134:135], v[18:19], s[30:31], v[88:89]
	v_fma_f64 v[88:89], v[18:19], s[30:31], -v[88:89]
	v_fma_f64 v[136:137], v[18:19], s[34:35], v[110:111]
	v_fma_f64 v[110:111], v[18:19], s[34:35], -v[110:111]
	;; [unrolled: 2-line block ×6, first 2 shown]
	v_mul_f64_e32 v[124:125], s[22:23], v[20:21]
	v_mul_f64_e32 v[130:131], s[44:45], v[20:21]
	;; [unrolled: 1-line block ×4, first 2 shown]
	v_add_f64_e32 v[34:35], v[148:149], v[36:37]
	v_add_f64_e32 v[36:37], v[150:151], v[42:43]
	;; [unrolled: 1-line block ×13, first 2 shown]
	v_mul_f64_e32 v[94:95], s[24:25], v[100:101]
	v_mul_f64_e32 v[108:109], s[38:39], v[100:101]
	;; [unrolled: 1-line block ×3, first 2 shown]
	v_add_f64_e32 v[22:23], v[22:23], v[84:85]
	v_mul_f64_e32 v[116:117], s[46:47], v[100:101]
	v_mul_f64_e32 v[120:121], s[20:21], v[100:101]
	v_fma_f64 v[148:149], v[48:49], s[26:27], v[126:127]
	v_fma_f64 v[126:127], v[48:49], s[26:27], -v[126:127]
	v_fma_f64 v[150:151], v[48:49], s[18:19], v[128:129]
	v_fma_f64 v[128:129], v[48:49], s[18:19], -v[128:129]
	v_mul_f64_e32 v[100:101], s[36:37], v[100:101]
	v_fma_f64 v[122:123], v[48:49], s[34:35], v[124:125]
	v_fma_f64 v[124:125], v[48:49], s[34:35], -v[124:125]
	v_fma_f64 v[152:153], v[48:49], s[40:41], v[130:131]
	v_fma_f64 v[130:131], v[48:49], s[40:41], -v[130:131]
	;; [unrolled: 2-line block ×3, first 2 shown]
	v_add_f64_e32 v[36:37], v[136:137], v[36:37]
	v_add_f64_e32 v[42:43], v[110:111], v[42:43]
	;; [unrolled: 1-line block ×3, first 2 shown]
	v_fma_f64 v[159:160], v[48:49], s[30:31], v[20:21]
	v_fma_f64 v[20:21], v[48:49], s[30:31], -v[20:21]
	v_add_f64_e32 v[34:35], v[134:135], v[34:35]
	v_add_f64_e32 v[48:49], v[142:143], v[90:91]
	;; [unrolled: 1-line block ×9, first 2 shown]
	v_fma_f64 v[44:45], v[92:93], s[40:41], v[94:95]
	v_add_f64_e32 v[22:23], v[22:23], v[80:81]
	v_fma_f64 v[88:89], v[92:93], s[40:41], -v[94:95]
	v_fma_f64 v[94:95], v[92:93], s[14:15], v[108:109]
	v_fma_f64 v[106:107], v[92:93], s[14:15], -v[108:109]
	v_fma_f64 v[108:109], v[92:93], s[34:35], v[114:115]
	v_fma_f64 v[110:111], v[92:93], s[34:35], -v[114:115]
	v_fma_f64 v[112:113], v[92:93], s[18:19], v[116:117]
	v_fma_f64 v[114:115], v[92:93], s[18:19], -v[116:117]
	v_fma_f64 v[116:117], v[92:93], s[30:31], v[120:121]
	v_fma_f64 v[118:119], v[92:93], s[30:31], -v[120:121]
	v_fma_f64 v[120:121], v[92:93], s[26:27], v[100:101]
	v_fma_f64 v[92:93], v[92:93], s[26:27], -v[100:101]
	v_add_f64_e32 v[36:37], v[148:149], v[36:37]
	v_add_f64_e32 v[42:43], v[126:127], v[42:43]
	;; [unrolled: 1-line block ×25, first 2 shown]
	v_add3_u32 v91, 0, v28, v29
	v_add_f64_e32 v[26:27], v[100:101], v[66:67]
	v_add_nc_u32_e32 v88, 0xd00, v156
	v_add_nc_u32_e32 v89, 0x1b00, v156
	v_add_nc_u32_e32 v90, 0x2900, v156
	ds_store_2addr_b64 v91, v[36:37], v[42:43] offset0:34 offset1:51
	ds_store_2addr_b64 v91, v[44:45], v[46:47] offset0:68 offset1:85
	;; [unrolled: 1-line block ×5, first 2 shown]
	ds_store_b64 v91, v[4:5] offset:1632
	ds_store_2addr_b64 v91, v[26:27], v[34:35] offset1:17
	global_wb scope:SCOPE_SE
	s_wait_dscnt 0x0
	s_barrier_signal -1
	s_barrier_wait -1
	global_inv scope:SCOPE_SE
	ds_load_2addr_b64 v[26:29], v156 offset1:221
	ds_load_2addr_b64 v[42:45], v88 offset0:26 offset1:247
	ds_load_2addr_b64 v[34:37], v89 offset0:20 offset1:241
	;; [unrolled: 1-line block ×3, first 2 shown]
	s_and_saveexec_b32 s1, s0
	s_cbranch_execz .LBB0_17
; %bb.16:
	v_add_nc_u32_e32 v0, 0x400, v156
	v_add_nc_u32_e32 v1, 0x1200, v156
	;; [unrolled: 1-line block ×4, first 2 shown]
	ds_load_2addr_b64 v[16:19], v0 offset0:8 offset1:229
	ds_load_2addr_b64 v[20:23], v1 offset0:2 offset1:223
	;; [unrolled: 1-line block ×4, first 2 shown]
.LBB0_17:
	s_wait_alu 0xfffe
	s_or_b32 exec_lo, exec_lo, s1
	v_add_f64_e32 v[92:93], v[24:25], v[70:71]
	v_add_f64_e32 v[70:71], v[70:71], v[50:51]
	v_add_f64_e64 v[58:59], v[58:59], -v[66:67]
	v_add_f64_e64 v[52:53], v[52:53], -v[68:69]
	;; [unrolled: 1-line block ×6, first 2 shown]
	global_wb scope:SCOPE_SE
	s_wait_dscnt 0x0
	s_barrier_signal -1
	s_barrier_wait -1
	global_inv scope:SCOPE_SE
	v_add_f64_e32 v[92:93], v[92:93], v[62:63]
	v_add_f64_e32 v[62:63], v[62:63], v[12:13]
	v_mul_f64_e32 v[66:67], s[14:15], v[70:71]
	v_mul_f64_e32 v[94:95], s[18:19], v[70:71]
	;; [unrolled: 1-line block ×6, first 2 shown]
	v_add_f64_e32 v[92:93], v[92:93], v[60:61]
	v_add_f64_e32 v[60:61], v[60:61], v[30:31]
	v_mul_f64_e32 v[68:69], s[18:19], v[62:63]
	v_mul_f64_e32 v[106:107], s[30:31], v[62:63]
	;; [unrolled: 1-line block ×6, first 2 shown]
	v_fma_f64 v[114:115], v[58:59], s[38:39], v[66:67]
	v_fma_f64 v[116:117], v[58:59], s[46:47], v[94:95]
	;; [unrolled: 1-line block ×12, first 2 shown]
	v_add_f64_e32 v[92:93], v[92:93], v[72:73]
	v_add_f64_e32 v[72:73], v[72:73], v[54:55]
	v_mul_f64_e32 v[80:81], s[26:27], v[60:61]
	v_mul_f64_e32 v[126:127], s[30:31], v[60:61]
	;; [unrolled: 1-line block ×4, first 2 shown]
	v_fma_f64 v[132:133], v[52:53], s[46:47], v[68:69]
	v_fma_f64 v[68:69], v[52:53], s[8:9], v[68:69]
	;; [unrolled: 1-line block ×12, first 2 shown]
	v_add_f64_e32 v[62:63], v[24:25], v[114:115]
	v_add_f64_e32 v[114:115], v[24:25], v[116:117]
	;; [unrolled: 1-line block ×13, first 2 shown]
	v_mul_f64_e32 v[84:85], s[30:31], v[72:73]
	v_mul_f64_e32 v[124:125], s[14:15], v[72:73]
	v_mul_f64_e32 v[144:145], s[26:27], v[72:73]
	v_mul_f64_e32 v[146:147], s[40:41], v[72:73]
	v_fma_f64 v[148:149], v[56:57], s[36:37], v[80:81]
	v_fma_f64 v[80:81], v[56:57], s[12:13], v[80:81]
	;; [unrolled: 1-line block ×8, first 2 shown]
	v_add_f64_e32 v[94:95], v[106:107], v[94:95]
	v_add_f64_e32 v[106:107], v[136:137], v[116:117]
	;; [unrolled: 1-line block ×11, first 2 shown]
	v_mul_f64_e32 v[92:93], s[40:41], v[60:61]
	v_mul_f64_e32 v[60:61], s[34:35], v[60:61]
	v_fma_f64 v[108:109], v[38:39], s[42:43], v[84:85]
	v_fma_f64 v[84:85], v[38:39], s[20:21], v[84:85]
	;; [unrolled: 1-line block ×4, first 2 shown]
	v_add_f64_e32 v[98:99], v[128:129], v[98:99]
	v_add_f64_e32 v[24:25], v[80:81], v[24:25]
	v_mul_f64_e32 v[64:65], s[14:15], v[68:69]
	v_mul_f64_e32 v[80:81], s[34:35], v[68:69]
	v_add_f64_e32 v[58:59], v[66:67], v[82:83]
	v_add_f64_e32 v[66:67], v[86:87], v[76:77]
	v_mul_f64_e32 v[86:87], s[34:35], v[72:73]
	v_mul_f64_e32 v[72:73], s[18:19], v[72:73]
	v_fma_f64 v[150:151], v[56:57], s[44:45], v[92:93]
	v_fma_f64 v[92:93], v[56:57], s[24:25], v[92:93]
	;; [unrolled: 1-line block ×4, first 2 shown]
	v_add_f64_e32 v[60:61], v[132:133], v[62:63]
	v_add_f64_e32 v[62:63], v[134:135], v[114:115]
	v_add_f64_e32 v[114:115], v[138:139], v[118:119]
	v_fma_f64 v[118:119], v[38:39], s[6:7], v[124:125]
	v_fma_f64 v[124:125], v[38:39], s[12:13], v[144:145]
	;; [unrolled: 1-line block ×4, first 2 shown]
	v_add_f64_e32 v[24:25], v[84:85], v[24:25]
	v_fma_f64 v[84:85], v[40:41], s[28:29], v[80:81]
	v_fma_f64 v[80:81], v[40:41], s[22:23], v[80:81]
	v_add_f64_e32 v[58:59], v[58:59], v[76:77]
	v_mul_f64_e32 v[74:75], s[34:35], v[66:67]
	v_mul_f64_e32 v[76:77], s[26:27], v[66:67]
	v_mul_f64_e32 v[78:79], s[18:19], v[66:67]
	v_mul_f64_e32 v[82:83], s[40:41], v[66:67]
	v_mul_f64_e32 v[100:101], s[14:15], v[66:67]
	v_mul_f64_e32 v[66:67], s[30:31], v[66:67]
	v_fma_f64 v[112:113], v[38:39], s[22:23], v[86:87]
	v_fma_f64 v[86:87], v[38:39], s[28:29], v[86:87]
	;; [unrolled: 1-line block ×4, first 2 shown]
	v_add_f64_e32 v[60:61], v[148:149], v[60:61]
	v_add_f64_e32 v[62:63], v[150:151], v[62:63]
	v_add_f64_e32 v[72:73], v[92:93], v[94:95]
	v_add_f64_e32 v[92:93], v[152:153], v[106:107]
	v_add_f64_e32 v[94:95], v[154:155], v[114:115]
	v_add_f64_e32 v[106:107], v[159:160], v[110:111]
	v_add_f64_e32 v[110:111], v[161:162], v[116:117]
	v_add_f64_e32 v[52:53], v[56:57], v[52:53]
	v_add_f64_e32 v[56:57], v[130:131], v[70:71]
	v_add_f64_e32 v[70:71], v[126:127], v[96:97]
	v_mul_f64_e32 v[96:97], s[18:19], v[68:69]
	v_mul_f64_e32 v[114:115], s[30:31], v[68:69]
	v_add_f64_e32 v[54:55], v[58:59], v[54:55]
	v_mul_f64_e32 v[58:59], s[40:41], v[68:69]
	v_mul_f64_e32 v[68:69], s[26:27], v[68:69]
	v_fma_f64 v[116:117], v[32:33], s[28:29], v[74:75]
	v_fma_f64 v[74:75], v[32:33], s[22:23], v[74:75]
	;; [unrolled: 1-line block ×12, first 2 shown]
	v_add_f64_e32 v[60:61], v[108:109], v[60:61]
	v_add_f64_e32 v[62:63], v[112:113], v[62:63]
	;; [unrolled: 1-line block ×11, first 2 shown]
	v_fma_f64 v[70:71], v[40:41], s[6:7], v[64:65]
	v_fma_f64 v[64:65], v[40:41], s[38:39], v[64:65]
	;; [unrolled: 1-line block ×6, first 2 shown]
	v_add_f64_e32 v[30:31], v[54:55], v[30:31]
	v_fma_f64 v[54:55], v[40:41], s[44:45], v[58:59]
	v_fma_f64 v[58:59], v[40:41], s[24:25], v[58:59]
	;; [unrolled: 1-line block ×4, first 2 shown]
	v_add_f64_e32 v[24:25], v[74:75], v[24:25]
	v_add_f64_e32 v[40:41], v[116:117], v[60:61]
	;; [unrolled: 1-line block ×26, first 2 shown]
	ds_store_2addr_b64 v91, v[60:61], v[62:63] offset0:34 offset1:51
	ds_store_2addr_b64 v91, v[64:65], v[66:67] offset0:68 offset1:85
	;; [unrolled: 1-line block ×5, first 2 shown]
	ds_store_b64 v91, v[12:13] offset:1632
	ds_store_2addr_b64 v91, v[24:25], v[54:55] offset1:17
	global_wb scope:SCOPE_SE
	s_wait_dscnt 0x0
	s_barrier_signal -1
	s_barrier_wait -1
	global_inv scope:SCOPE_SE
	ds_load_2addr_b64 v[50:53], v156 offset1:221
	ds_load_2addr_b64 v[54:57], v88 offset0:26 offset1:247
	ds_load_2addr_b64 v[62:65], v89 offset0:20 offset1:241
	;; [unrolled: 1-line block ×3, first 2 shown]
	s_and_saveexec_b32 s1, s0
	s_cbranch_execz .LBB0_19
; %bb.18:
	v_add_nc_u32_e32 v8, 0x400, v156
	v_add_nc_u32_e32 v9, 0x1200, v156
	;; [unrolled: 1-line block ×4, first 2 shown]
	ds_load_2addr_b64 v[30:33], v8 offset0:8 offset1:229
	ds_load_2addr_b64 v[38:41], v9 offset0:2 offset1:223
	ds_load_2addr_b64 v[12:15], v10 offset0:28 offset1:249
	ds_load_2addr_b64 v[8:11], v11 offset0:22 offset1:243
.LBB0_19:
	s_wait_alu 0xfffe
	s_or_b32 exec_lo, exec_lo, s1
	s_and_saveexec_b32 s1, vcc_lo
	s_cbranch_execz .LBB0_22
; %bb.20:
	v_mul_u32_u24_e32 v24, 7, v158
	s_mov_b32 s7, 0xbfe6a09e
	s_delay_alu instid0(VALU_DEP_1)
	v_lshlrev_b32_e32 v24, 4, v24
	s_clause 0x6
	global_load_b128 v[66:69], v24, s[4:5] offset:3312
	global_load_b128 v[70:73], v24, s[4:5] offset:3280
	;; [unrolled: 1-line block ×7, first 2 shown]
	s_wait_loadcnt 0x6
	v_mul_f64_e32 v[24:25], v[34:35], v[68:69]
	s_wait_loadcnt 0x5
	v_mul_f64_e32 v[94:95], v[42:43], v[70:71]
	;; [unrolled: 2-line block ×7, first 2 shown]
	s_wait_dscnt 0x3
	v_mul_f64_e32 v[80:81], v[52:53], v[80:81]
	s_wait_dscnt 0x1
	v_mul_f64_e32 v[84:85], v[64:65], v[84:85]
	v_mul_f64_e32 v[44:45], v[44:45], v[88:89]
	;; [unrolled: 1-line block ×6, first 2 shown]
	v_fma_f64 v[24:25], v[62:63], v[66:67], -v[24:25]
	v_fma_f64 v[62:63], v[54:55], v[72:73], v[94:95]
	s_wait_dscnt 0x0
	v_fma_f64 v[72:73], v[58:59], v[76:77], v[96:97]
	v_fma_f64 v[52:53], v[52:53], v[78:79], -v[98:99]
	v_fma_f64 v[64:65], v[64:65], v[82:83], -v[100:101]
	v_fma_f64 v[76:77], v[56:57], v[88:89], v[106:107]
	v_fma_f64 v[88:89], v[60:61], v[92:93], v[108:109]
	;; [unrolled: 1-line block ×4, first 2 shown]
	v_fma_f64 v[44:45], v[56:57], v[86:87], -v[44:45]
	v_fma_f64 v[48:49], v[60:61], v[90:91], -v[48:49]
	;; [unrolled: 1-line block ×4, first 2 shown]
	v_fma_f64 v[34:35], v[34:35], v[66:67], v[68:69]
	v_mul_lo_u32 v92, s3, v104
	v_mul_lo_u32 v93, s2, v105
	v_add_nc_u32_e32 v101, 0x374, v158
	s_delay_alu instid0(VALU_DEP_1)
	v_mad_co_u64_u32 v[86:87], null, s16, v101, 0
	v_add_nc_u32_e32 v100, 0x297, v158
	v_add_f64_e64 v[24:25], v[50:51], -v[24:25]
	v_add_f64_e64 v[54:55], v[62:63], -v[72:73]
	v_lshlrev_b64_e32 v[72:73], 4, v[102:103]
	v_add_f64_e64 v[56:57], v[52:53], -v[64:65]
	v_add_nc_u32_e32 v102, 0x451, v158
	v_add_f64_e64 v[58:59], v[76:77], -v[88:89]
	v_add_nc_u32_e32 v103, 0x52e, v158
	v_add_f64_e64 v[36:37], v[28:29], -v[36:37]
	v_add_f64_e64 v[48:49], v[44:45], -v[48:49]
	v_mad_co_u64_u32 v[88:89], null, s16, v102, 0
	v_add_f64_e64 v[46:47], v[42:43], -v[46:47]
	v_add_f64_e64 v[34:35], v[26:27], -v[34:35]
	v_mad_co_u64_u32 v[90:91], null, s16, v103, 0
	v_fma_f64 v[50:51], v[50:51], 2.0, -v[24:25]
	v_add_f64_e64 v[60:61], v[24:25], -v[54:55]
	v_add_f64_e64 v[64:65], v[56:57], -v[58:59]
	v_fma_f64 v[28:29], v[28:29], 2.0, -v[36:37]
	v_add_f64_e32 v[66:67], v[36:37], v[48:49]
	v_fma_f64 v[44:45], v[44:45], 2.0, -v[48:49]
	v_fma_f64 v[48:49], v[62:63], 2.0, -v[54:55]
	;; [unrolled: 1-line block ×3, first 2 shown]
	v_add_f64_e32 v[68:69], v[34:35], v[46:47]
	v_fma_f64 v[26:27], v[26:27], 2.0, -v[34:35]
	v_fma_f64 v[46:47], v[52:53], 2.0, -v[56:57]
	;; [unrolled: 1-line block ×6, first 2 shown]
	v_add_f64_e64 v[62:63], v[50:51], -v[42:43]
	v_fma_f64 v[58:59], v[34:35], 2.0, -v[68:69]
	v_add_f64_e64 v[70:71], v[26:27], -v[48:49]
	v_add_f64_e64 v[34:35], v[46:47], -v[44:45]
	;; [unrolled: 1-line block ×3, first 2 shown]
	v_mad_co_u64_u32 v[42:43], null, s2, v104, 0
	s_mov_b32 s2, 0x667f3bcd
	s_mov_b32 s3, 0x3fe6a09e
	s_wait_alu 0xfffe
	s_mov_b32 s6, s2
	v_fma_f64 v[44:45], v[64:65], s[2:3], v[60:61]
	v_fma_f64 v[80:81], v[66:67], s[2:3], v[68:69]
	v_mad_co_u64_u32 v[52:53], null, s16, v158, 0
	v_add_nc_u32_e32 v97, 0xdd, v158
	v_add3_u32 v43, v43, v93, v92
	v_add_nc_u32_e32 v104, 0x60b, v158
	s_wait_alu 0xfffe
	v_fma_f64 v[48:49], v[24:25], s[6:7], v[54:55]
	v_fma_f64 v[50:51], v[50:51], 2.0, -v[62:63]
	v_fma_f64 v[74:75], v[56:57], s[6:7], v[58:59]
	v_fma_f64 v[76:77], v[26:27], 2.0, -v[70:71]
	v_fma_f64 v[46:47], v[46:47], 2.0, -v[34:35]
	;; [unrolled: 1-line block ×3, first 2 shown]
	v_mov_b32_e32 v28, v53
	v_mad_co_u64_u32 v[78:79], null, s16, v97, 0
	v_add_nc_u32_e32 v99, 0x1ba, v158
	v_mov_b32_e32 v53, v87
	s_delay_alu instid0(VALU_DEP_4)
	v_mad_co_u64_u32 v[94:95], null, s17, v158, v[28:29]
	v_mad_co_u64_u32 v[84:85], null, s16, v100, 0
	v_mov_b32_e32 v28, v79
	v_mad_co_u64_u32 v[82:83], null, s16, v99, 0
	v_lshlrev_b64_e32 v[95:96], 4, v[42:43]
	v_add_f64_e64 v[36:37], v[62:63], -v[36:37]
	v_add_f64_e32 v[34:35], v[70:71], v[34:35]
	v_dual_mov_b32 v42, v85 :: v_dual_mov_b32 v79, v89
	v_mov_b32_e32 v29, v83
	v_mov_b32_e32 v83, v91
	v_mad_co_u64_u32 v[92:93], null, s16, v104, 0
	s_delay_alu instid0(VALU_DEP_3)
	v_mad_co_u64_u32 v[97:98], null, s17, v97, v[28:29]
	v_mad_co_u64_u32 v[98:99], null, s17, v99, v[29:30]
	v_fma_f64 v[28:29], v[66:67], s[6:7], v[44:45]
	v_fma_f64 v[44:45], v[56:57], s[6:7], v[48:49]
	v_mad_co_u64_u32 v[99:100], null, s17, v100, v[42:43]
	v_mad_co_u64_u32 v[56:57], null, s17, v101, v[53:54]
	v_mov_b32_e32 v53, v94
	v_fma_f64 v[42:43], v[24:25], s[2:3], v[74:75]
	v_add_co_u32 v24, vcc_lo, s10, v95
	v_add_f64_e64 v[48:49], v[50:51], -v[46:47]
	v_add_f64_e64 v[46:47], v[76:77], -v[26:27]
	v_fma_f64 v[26:27], v[64:65], s[2:3], v[80:81]
	v_mad_co_u64_u32 v[64:65], null, s17, v102, v[79:80]
	v_mad_co_u64_u32 v[65:66], null, s17, v103, v[83:84]
	s_wait_alu 0xfffd
	v_add_co_ci_u32_e32 v25, vcc_lo, s11, v96, vcc_lo
	v_mov_b32_e32 v85, v93
	v_add_co_u32 v24, vcc_lo, v24, v72
	v_mov_b32_e32 v87, v56
	v_mov_b32_e32 v89, v64
	;; [unrolled: 1-line block ×3, first 2 shown]
	v_fma_f64 v[56:57], v[62:63], 2.0, -v[36:37]
	s_wait_alu 0xfffd
	v_add_co_ci_u32_e32 v25, vcc_lo, v25, v73, vcc_lo
	v_lshlrev_b64_e32 v[72:73], 4, v[52:53]
	v_mad_co_u64_u32 v[66:67], null, s17, v104, v[85:86]
	v_mov_b32_e32 v79, v97
	v_mov_b32_e32 v83, v98
	;; [unrolled: 1-line block ×3, first 2 shown]
	v_add_co_u32 v72, vcc_lo, v24, v72
	s_wait_alu 0xfffd
	v_add_co_ci_u32_e32 v73, vcc_lo, v25, v73, vcc_lo
	v_fma_f64 v[52:53], v[60:61], 2.0, -v[28:29]
	v_fma_f64 v[60:61], v[54:55], 2.0, -v[44:45]
	;; [unrolled: 1-line block ×3, first 2 shown]
	v_mov_b32_e32 v93, v66
	v_lshlrev_b64_e32 v[66:67], 4, v[78:79]
	v_lshlrev_b64_e32 v[74:75], 4, v[82:83]
	;; [unrolled: 1-line block ×3, first 2 shown]
	v_fma_f64 v[58:59], v[58:59], 2.0, -v[42:43]
	v_lshlrev_b64_e32 v[80:81], 4, v[86:87]
	v_lshlrev_b64_e32 v[82:83], 4, v[88:89]
	v_fma_f64 v[64:65], v[50:51], 2.0, -v[48:49]
	v_fma_f64 v[62:63], v[76:77], 2.0, -v[46:47]
	;; [unrolled: 1-line block ×3, first 2 shown]
	v_add_co_u32 v66, vcc_lo, v24, v66
	s_wait_alu 0xfffd
	v_add_co_ci_u32_e32 v67, vcc_lo, v25, v67, vcc_lo
	v_add_co_u32 v74, vcc_lo, v24, v74
	s_wait_alu 0xfffd
	v_add_co_ci_u32_e32 v75, vcc_lo, v25, v75, vcc_lo
	;; [unrolled: 3-line block ×3, first 2 shown]
	v_lshlrev_b64_e32 v[68:69], 4, v[90:91]
	v_add_co_u32 v78, vcc_lo, v24, v80
	s_wait_alu 0xfffd
	v_add_co_ci_u32_e32 v79, vcc_lo, v25, v81, vcc_lo
	v_lshlrev_b64_e32 v[70:71], 4, v[92:93]
	v_add_co_u32 v80, vcc_lo, v24, v82
	s_wait_alu 0xfffd
	v_add_co_ci_u32_e32 v81, vcc_lo, v25, v83, vcc_lo
	v_add_co_u32 v68, vcc_lo, v24, v68
	s_wait_alu 0xfffd
	v_add_co_ci_u32_e32 v69, vcc_lo, v25, v69, vcc_lo
	;; [unrolled: 3-line block ×3, first 2 shown]
	s_clause 0x7
	global_store_b128 v[72:73], v[62:65], off
	global_store_b128 v[66:67], v[58:61], off
	;; [unrolled: 1-line block ×8, first 2 shown]
	s_and_b32 exec_lo, exec_lo, s0
	s_cbranch_execz .LBB0_22
; %bb.21:
	v_dual_mov_b32 v27, 0 :: v_dual_add_nc_u32 v76, 0x88, v158
	v_add_nc_u32_e32 v26, 0xffffffab, v158
	s_delay_alu instid0(VALU_DEP_1) | instskip(NEXT) | instid1(VALU_DEP_1)
	v_cndmask_b32_e64 v26, v26, v76, s0
	v_mul_i32_i24_e32 v26, 7, v26
	s_delay_alu instid0(VALU_DEP_1) | instskip(NEXT) | instid1(VALU_DEP_1)
	v_lshlrev_b64_e32 v[26:27], 4, v[26:27]
	v_add_co_u32 v58, vcc_lo, s4, v26
	s_wait_alu 0xfffd
	s_delay_alu instid0(VALU_DEP_2)
	v_add_co_ci_u32_e32 v59, vcc_lo, s5, v27, vcc_lo
	s_clause 0x6
	global_load_b128 v[26:29], v[58:59], off offset:3264
	global_load_b128 v[34:37], v[58:59], off offset:3280
	;; [unrolled: 1-line block ×7, first 2 shown]
	s_wait_loadcnt 0x6
	v_mul_f64_e32 v[62:63], v[32:33], v[28:29]
	v_mul_f64_e32 v[28:29], v[18:19], v[28:29]
	s_wait_loadcnt 0x5
	v_mul_f64_e32 v[64:65], v[38:39], v[36:37]
	v_mul_f64_e32 v[36:37], v[20:21], v[36:37]
	;; [unrolled: 3-line block ×4, first 2 shown]
	s_wait_loadcnt 0x2
	v_mul_f64_e32 v[70:71], v[14:15], v[52:53]
	s_wait_loadcnt 0x1
	v_mul_f64_e32 v[72:73], v[40:41], v[56:57]
	v_mul_f64_e32 v[56:57], v[22:23], v[56:57]
	s_wait_loadcnt 0x0
	v_mul_f64_e32 v[74:75], v[10:11], v[60:61]
	v_mul_f64_e32 v[60:61], v[2:3], v[60:61]
	;; [unrolled: 1-line block ×3, first 2 shown]
	v_fma_f64 v[18:19], v[18:19], v[26:27], v[62:63]
	v_fma_f64 v[26:27], v[32:33], v[26:27], -v[28:29]
	v_fma_f64 v[20:21], v[20:21], v[34:35], v[64:65]
	v_fma_f64 v[28:29], v[38:39], v[34:35], -v[36:37]
	;; [unrolled: 2-line block ×4, first 2 shown]
	v_fma_f64 v[6:7], v[6:7], v[50:51], v[70:71]
	v_fma_f64 v[22:23], v[22:23], v[54:55], v[72:73]
	v_fma_f64 v[32:33], v[40:41], v[54:55], -v[56:57]
	v_fma_f64 v[2:3], v[2:3], v[58:59], v[74:75]
	v_fma_f64 v[10:11], v[10:11], v[58:59], -v[60:61]
	v_fma_f64 v[14:15], v[14:15], v[50:51], -v[52:53]
	v_add_nc_u32_e32 v58, 0x165, v158
	v_add_nc_u32_e32 v59, 0x242, v158
	;; [unrolled: 1-line block ×5, first 2 shown]
	v_mad_co_u64_u32 v[44:45], null, s16, v58, 0
	v_mad_co_u64_u32 v[46:47], null, s16, v59, 0
	;; [unrolled: 1-line block ×5, first 2 shown]
	v_add_f64_e64 v[4:5], v[16:17], -v[4:5]
	v_add_f64_e64 v[12:13], v[30:31], -v[12:13]
	;; [unrolled: 1-line block ×8, first 2 shown]
	v_fma_f64 v[16:17], v[16:17], 2.0, -v[4:5]
	v_fma_f64 v[30:31], v[30:31], 2.0, -v[12:13]
	v_fma_f64 v[20:21], v[20:21], 2.0, -v[0:1]
	v_add_f64_e32 v[34:35], v[4:5], v[8:9]
	v_add_f64_e64 v[36:37], v[12:13], -v[0:1]
	v_fma_f64 v[28:29], v[28:29], 2.0, -v[8:9]
	v_fma_f64 v[18:19], v[18:19], 2.0, -v[6:7]
	;; [unrolled: 1-line block ×3, first 2 shown]
	v_add_f64_e32 v[22:23], v[6:7], v[10:11]
	v_fma_f64 v[26:27], v[26:27], 2.0, -v[14:15]
	v_fma_f64 v[8:9], v[32:33], 2.0, -v[10:11]
	v_add_f64_e64 v[32:33], v[14:15], -v[2:3]
	v_add_f64_e64 v[20:21], v[16:17], -v[20:21]
	v_fma_f64 v[38:39], v[4:5], 2.0, -v[34:35]
	v_fma_f64 v[40:41], v[12:13], 2.0, -v[36:37]
	v_add_f64_e64 v[28:29], v[30:31], -v[28:29]
	v_add_f64_e64 v[2:3], v[18:19], -v[0:1]
	v_fma_f64 v[10:11], v[6:7], 2.0, -v[22:23]
	v_add_f64_e64 v[0:1], v[26:27], -v[8:9]
	v_fma_f64 v[8:9], v[14:15], 2.0, -v[32:33]
	v_fma_f64 v[42:43], v[16:17], 2.0, -v[20:21]
	v_fma_f64 v[16:17], v[22:23], s[2:3], v[34:35]
	v_fma_f64 v[30:31], v[30:31], 2.0, -v[28:29]
	v_fma_f64 v[4:5], v[18:19], 2.0, -v[2:3]
	v_fma_f64 v[12:13], v[10:11], s[6:7], v[38:39]
	v_fma_f64 v[18:19], v[32:33], s[2:3], v[36:37]
	v_fma_f64 v[6:7], v[26:27], 2.0, -v[0:1]
	v_fma_f64 v[14:15], v[8:9], s[6:7], v[40:41]
	v_mad_co_u64_u32 v[26:27], null, s16, v76, 0
	v_add_f64_e32 v[0:1], v[20:21], v[0:1]
	v_add_f64_e64 v[2:3], v[28:29], -v[2:3]
	v_add_f64_e64 v[4:5], v[42:43], -v[4:5]
	v_fma_f64 v[8:9], v[8:9], s[2:3], v[12:13]
	v_fma_f64 v[12:13], v[32:33], s[2:3], v[16:17]
	v_mad_co_u64_u32 v[16:17], null, s17, v76, v[27:28]
	v_fma_f64 v[10:11], v[10:11], s[6:7], v[14:15]
	v_fma_f64 v[14:15], v[22:23], s[6:7], v[18:19]
	v_mad_co_u64_u32 v[17:18], null, s17, v58, v[45:46]
	v_mad_co_u64_u32 v[18:19], null, s17, v59, v[47:48]
	v_add_f64_e64 v[6:7], v[30:31], -v[6:7]
	v_mov_b32_e32 v27, v16
	s_delay_alu instid0(VALU_DEP_4)
	v_mov_b32_e32 v45, v17
	v_fma_f64 v[16:17], v[20:21], 2.0, -v[0:1]
	v_mov_b32_e32 v47, v18
	v_mad_co_u64_u32 v[22:23], null, s17, v60, v[49:50]
	v_add_nc_u32_e32 v62, 0x4d9, v158
	v_fma_f64 v[18:19], v[28:29], 2.0, -v[2:3]
	v_lshlrev_b64_e32 v[44:45], 4, v[44:45]
	v_lshlrev_b64_e32 v[46:47], 4, v[46:47]
	v_mov_b32_e32 v49, v22
	v_mad_co_u64_u32 v[52:53], null, s16, v62, 0
	s_delay_alu instid0(VALU_DEP_2) | instskip(NEXT) | instid1(VALU_DEP_2)
	v_lshlrev_b64_e32 v[48:49], 4, v[48:49]
	v_mad_co_u64_u32 v[32:33], null, s17, v61, v[51:52]
	v_add_nc_u32_e32 v64, 0x693, v158
	s_delay_alu instid0(VALU_DEP_4) | instskip(SKIP_1) | instid1(VALU_DEP_4)
	v_mad_co_u64_u32 v[58:59], null, s17, v62, v[53:54]
	v_fma_f64 v[20:21], v[42:43], 2.0, -v[4:5]
	v_mov_b32_e32 v51, v32
	s_delay_alu instid0(VALU_DEP_4) | instskip(NEXT) | instid1(VALU_DEP_4)
	v_mad_co_u64_u32 v[56:57], null, s16, v64, 0
	v_mov_b32_e32 v53, v58
	v_fma_f64 v[28:29], v[40:41], 2.0, -v[10:11]
	v_fma_f64 v[32:33], v[36:37], 2.0, -v[14:15]
	;; [unrolled: 1-line block ×4, first 2 shown]
	v_lshlrev_b64_e32 v[50:51], 4, v[50:51]
	v_mad_co_u64_u32 v[59:60], null, s17, v63, v[55:56]
	v_mad_co_u64_u32 v[60:61], null, s17, v64, v[57:58]
	v_lshlrev_b64_e32 v[52:53], 4, v[52:53]
	s_delay_alu instid0(VALU_DEP_3) | instskip(SKIP_3) | instid1(VALU_DEP_4)
	v_mov_b32_e32 v55, v59
	v_lshlrev_b64_e32 v[58:59], 4, v[26:27]
	v_fma_f64 v[26:27], v[38:39], 2.0, -v[8:9]
	v_mov_b32_e32 v57, v60
	v_lshlrev_b64_e32 v[34:35], 4, v[54:55]
	s_delay_alu instid0(VALU_DEP_4)
	v_add_co_u32 v38, vcc_lo, v24, v58
	s_wait_alu 0xfffd
	v_add_co_ci_u32_e32 v39, vcc_lo, v25, v59, vcc_lo
	v_add_co_u32 v40, vcc_lo, v24, v44
	s_wait_alu 0xfffd
	v_add_co_ci_u32_e32 v41, vcc_lo, v25, v45, vcc_lo
	;; [unrolled: 3-line block ×5, first 2 shown]
	v_lshlrev_b64_e32 v[36:37], 4, v[56:57]
	v_add_co_u32 v48, vcc_lo, v24, v52
	s_wait_alu 0xfffd
	v_add_co_ci_u32_e32 v49, vcc_lo, v25, v53, vcc_lo
	v_add_co_u32 v34, vcc_lo, v24, v34
	s_wait_alu 0xfffd
	v_add_co_ci_u32_e32 v35, vcc_lo, v25, v35, vcc_lo
	v_add_co_u32 v24, vcc_lo, v24, v36
	s_wait_alu 0xfffd
	v_add_co_ci_u32_e32 v25, vcc_lo, v25, v37, vcc_lo
	s_clause 0x7
	global_store_b128 v[38:39], v[20:23], off
	global_store_b128 v[40:41], v[26:29], off
	;; [unrolled: 1-line block ×8, first 2 shown]
.LBB0_22:
	s_nop 0
	s_sendmsg sendmsg(MSG_DEALLOC_VGPRS)
	s_endpgm
	.section	.rodata,"a",@progbits
	.p2align	6, 0x0
	.amdhsa_kernel fft_rtc_back_len1768_factors_17_13_8_wgs_136_tpt_136_halfLds_dp_op_CI_CI_sbrr_dirReg
		.amdhsa_group_segment_fixed_size 0
		.amdhsa_private_segment_fixed_size 0
		.amdhsa_kernarg_size 104
		.amdhsa_user_sgpr_count 2
		.amdhsa_user_sgpr_dispatch_ptr 0
		.amdhsa_user_sgpr_queue_ptr 0
		.amdhsa_user_sgpr_kernarg_segment_ptr 1
		.amdhsa_user_sgpr_dispatch_id 0
		.amdhsa_user_sgpr_private_segment_size 0
		.amdhsa_wavefront_size32 1
		.amdhsa_uses_dynamic_stack 0
		.amdhsa_enable_private_segment 0
		.amdhsa_system_sgpr_workgroup_id_x 1
		.amdhsa_system_sgpr_workgroup_id_y 0
		.amdhsa_system_sgpr_workgroup_id_z 0
		.amdhsa_system_sgpr_workgroup_info 0
		.amdhsa_system_vgpr_workitem_id 0
		.amdhsa_next_free_vgpr 211
		.amdhsa_next_free_sgpr 62
		.amdhsa_reserve_vcc 1
		.amdhsa_float_round_mode_32 0
		.amdhsa_float_round_mode_16_64 0
		.amdhsa_float_denorm_mode_32 3
		.amdhsa_float_denorm_mode_16_64 3
		.amdhsa_fp16_overflow 0
		.amdhsa_workgroup_processor_mode 1
		.amdhsa_memory_ordered 1
		.amdhsa_forward_progress 0
		.amdhsa_round_robin_scheduling 0
		.amdhsa_exception_fp_ieee_invalid_op 0
		.amdhsa_exception_fp_denorm_src 0
		.amdhsa_exception_fp_ieee_div_zero 0
		.amdhsa_exception_fp_ieee_overflow 0
		.amdhsa_exception_fp_ieee_underflow 0
		.amdhsa_exception_fp_ieee_inexact 0
		.amdhsa_exception_int_div_zero 0
	.end_amdhsa_kernel
	.text
.Lfunc_end0:
	.size	fft_rtc_back_len1768_factors_17_13_8_wgs_136_tpt_136_halfLds_dp_op_CI_CI_sbrr_dirReg, .Lfunc_end0-fft_rtc_back_len1768_factors_17_13_8_wgs_136_tpt_136_halfLds_dp_op_CI_CI_sbrr_dirReg
                                        ; -- End function
	.section	.AMDGPU.csdata,"",@progbits
; Kernel info:
; codeLenInByte = 14152
; NumSgprs: 64
; NumVgprs: 211
; ScratchSize: 0
; MemoryBound: 1
; FloatMode: 240
; IeeeMode: 1
; LDSByteSize: 0 bytes/workgroup (compile time only)
; SGPRBlocks: 7
; VGPRBlocks: 26
; NumSGPRsForWavesPerEU: 64
; NumVGPRsForWavesPerEU: 211
; Occupancy: 7
; WaveLimiterHint : 1
; COMPUTE_PGM_RSRC2:SCRATCH_EN: 0
; COMPUTE_PGM_RSRC2:USER_SGPR: 2
; COMPUTE_PGM_RSRC2:TRAP_HANDLER: 0
; COMPUTE_PGM_RSRC2:TGID_X_EN: 1
; COMPUTE_PGM_RSRC2:TGID_Y_EN: 0
; COMPUTE_PGM_RSRC2:TGID_Z_EN: 0
; COMPUTE_PGM_RSRC2:TIDIG_COMP_CNT: 0
	.text
	.p2alignl 7, 3214868480
	.fill 96, 4, 3214868480
	.type	__hip_cuid_1c06a02b900c3c6a,@object ; @__hip_cuid_1c06a02b900c3c6a
	.section	.bss,"aw",@nobits
	.globl	__hip_cuid_1c06a02b900c3c6a
__hip_cuid_1c06a02b900c3c6a:
	.byte	0                               ; 0x0
	.size	__hip_cuid_1c06a02b900c3c6a, 1

	.ident	"AMD clang version 19.0.0git (https://github.com/RadeonOpenCompute/llvm-project roc-6.4.0 25133 c7fe45cf4b819c5991fe208aaa96edf142730f1d)"
	.section	".note.GNU-stack","",@progbits
	.addrsig
	.addrsig_sym __hip_cuid_1c06a02b900c3c6a
	.amdgpu_metadata
---
amdhsa.kernels:
  - .args:
      - .actual_access:  read_only
        .address_space:  global
        .offset:         0
        .size:           8
        .value_kind:     global_buffer
      - .offset:         8
        .size:           8
        .value_kind:     by_value
      - .actual_access:  read_only
        .address_space:  global
        .offset:         16
        .size:           8
        .value_kind:     global_buffer
      - .actual_access:  read_only
        .address_space:  global
        .offset:         24
        .size:           8
        .value_kind:     global_buffer
      - .actual_access:  read_only
        .address_space:  global
        .offset:         32
        .size:           8
        .value_kind:     global_buffer
      - .offset:         40
        .size:           8
        .value_kind:     by_value
      - .actual_access:  read_only
        .address_space:  global
        .offset:         48
        .size:           8
        .value_kind:     global_buffer
      - .actual_access:  read_only
        .address_space:  global
        .offset:         56
        .size:           8
        .value_kind:     global_buffer
      - .offset:         64
        .size:           4
        .value_kind:     by_value
      - .actual_access:  read_only
        .address_space:  global
        .offset:         72
        .size:           8
        .value_kind:     global_buffer
      - .actual_access:  read_only
        .address_space:  global
        .offset:         80
        .size:           8
        .value_kind:     global_buffer
      - .actual_access:  read_only
        .address_space:  global
        .offset:         88
        .size:           8
        .value_kind:     global_buffer
      - .actual_access:  write_only
        .address_space:  global
        .offset:         96
        .size:           8
        .value_kind:     global_buffer
    .group_segment_fixed_size: 0
    .kernarg_segment_align: 8
    .kernarg_segment_size: 104
    .language:       OpenCL C
    .language_version:
      - 2
      - 0
    .max_flat_workgroup_size: 136
    .name:           fft_rtc_back_len1768_factors_17_13_8_wgs_136_tpt_136_halfLds_dp_op_CI_CI_sbrr_dirReg
    .private_segment_fixed_size: 0
    .sgpr_count:     64
    .sgpr_spill_count: 0
    .symbol:         fft_rtc_back_len1768_factors_17_13_8_wgs_136_tpt_136_halfLds_dp_op_CI_CI_sbrr_dirReg.kd
    .uniform_work_group_size: 1
    .uses_dynamic_stack: false
    .vgpr_count:     211
    .vgpr_spill_count: 0
    .wavefront_size: 32
    .workgroup_processor_mode: 1
amdhsa.target:   amdgcn-amd-amdhsa--gfx1201
amdhsa.version:
  - 1
  - 2
...

	.end_amdgpu_metadata
